;; amdgpu-corpus repo=zjin-lcf/HeCBench kind=compiled arch=gfx90a opt=O3
	.text
	.amdgcn_target "amdgcn-amd-amdhsa--gfx90a"
	.amdhsa_code_object_version 6
	.protected	_Z20calculateForceKernelP6atom_tidPKdS2_idiid ; -- Begin function _Z20calculateForceKernelP6atom_tidPKdS2_idiid
	.globl	_Z20calculateForceKernelP6atom_tidPKdS2_idiid
	.p2align	8
	.type	_Z20calculateForceKernelP6atom_tidPKdS2_idiid,@function
_Z20calculateForceKernelP6atom_tidPKdS2_idiid: ; @_Z20calculateForceKernelP6atom_tidPKdS2_idiid
; %bb.0:
	s_mov_b64 s[98:99], s[2:3]
	s_mov_b64 s[96:97], s[0:1]
	s_load_dword s0, s[4:5], 0x54
                                        ; implicit-def: $vgpr127 : SGPR spill to VGPR lane
	s_add_u32 s96, s96, s7
	v_writelane_b32 v127, s4, 0
	s_load_dword s50, s[4:5], 0x8
	s_addc_u32 s97, s97, 0
	s_waitcnt lgkmcnt(0)
	s_and_b32 s0, s0, 0xffff
	s_mul_i32 s6, s6, s0
	v_add_u32_e32 v126, s6, v0
	v_writelane_b32 v127, s5, 1
	v_cmp_gt_i32_e32 vcc, s50, v126
	s_and_saveexec_b64 s[0:1], vcc
	s_cbranch_execz .LBB0_119
; %bb.1:
	v_readlane_b32 s4, v127, 0
	v_readlane_b32 s5, v127, 1
	s_load_dwordx2 s[6:7], s[4:5], 0x0
	s_load_dwordx4 s[0:3], s[4:5], 0x10
	s_waitcnt lgkmcnt(0)
	v_writelane_b32 v127, s0, 2
	v_writelane_b32 v127, s1, 3
	;; [unrolled: 1-line block ×4, first 2 shown]
	s_movk_i32 s0, 0x70
	v_writelane_b32 v127, s6, 6
	v_pk_mov_b32 v[0:1], s[6:7], s[6:7] op_sel:[0,1]
	v_mad_i64_i32 v[38:39], s[0:1], v126, s0, v[0:1]
	global_load_dwordx4 v[6:9], v[38:39], off offset:16
	global_load_dwordx4 v[10:13], v[38:39], off
	global_load_dwordx4 v[14:17], v[38:39], off offset:32
	global_load_dwordx2 v[40:41], v[38:39], off offset:72
	global_load_dwordx4 v[18:21], v[38:39], off offset:96
	global_load_dwordx4 v[22:25], v[38:39], off offset:80
	s_load_dword s2, s[4:5], 0x28
	s_load_dwordx2 s[30:31], s[4:5], 0x20
	v_writelane_b32 v127, s7, 7
	v_writelane_b32 v127, s50, 8
	s_waitcnt lgkmcnt(0)
	s_cmp_gt_u32 s2, 2
	s_cbranch_scc0 .LBB0_4
; %bb.2:
	s_add_i32 s0, s2, -1
	s_cmp_gt_u32 s0, 1
	s_cbranch_scc0 .LBB0_33
.LBB0_3:
	s_cmp_lg_u32 s2, 2
	s_cbranch_scc0 .LBB0_90
	s_branch .LBB0_119
.LBB0_4:
	v_add_u32_e32 v54, 1, v126
	v_pk_mov_b32 v[4:5], 0, 0
	v_cmp_gt_i32_e32 vcc, s50, v54
	v_pk_mov_b32 v[26:27], v[4:5], v[4:5] op_sel:[0,1]
	v_pk_mov_b32 v[28:29], v[4:5], v[4:5] op_sel:[0,1]
	s_and_saveexec_b64 s[6:7], vcc
	s_cbranch_execz .LBB0_26
; %bb.5:
	s_mov_b32 s5, s2
	v_readlane_b32 s2, v127, 6
	v_pk_mov_b32 v[28:29], 0, 0
	v_readlane_b32 s3, v127, 7
	s_mov_b32 s28, 0
	s_mov_b32 s34, 0
	s_waitcnt vmcnt(2)
	v_cmp_eq_u32_e64 s[24:25], 0, v41
	v_cmp_ne_u32_e64 s[0:1], 0, v41
	s_mov_b64 s[26:27], 0
	s_movk_i32 s4, 0x70
	v_pk_mov_b32 v[30:31], s[2:3], s[2:3] op_sel:[0,1]
	s_brev_b32 s29, 8
	v_mov_b32_e32 v55, 0x260
	s_mov_b32 s35, 0x40380000
	v_mov_b32_e32 v56, 0xffffff80
	v_pk_mov_b32 v[26:27], v[28:29], v[28:29] op_sel:[0,1]
	v_pk_mov_b32 v[4:5], v[28:29], v[28:29] op_sel:[0,1]
	s_branch .LBB0_10
.LBB0_6:                                ;   in Loop: Header=BB0_10 Depth=1
	s_or_b64 exec, exec, s[8:9]
.LBB0_7:                                ;   in Loop: Header=BB0_10 Depth=1
	s_or_b64 exec, exec, s[2:3]
.LBB0_8:                                ;   in Loop: Header=BB0_10 Depth=1
	s_or_b64 exec, exec, s[54:55]
.LBB0_9:                                ;   in Loop: Header=BB0_10 Depth=1
	s_or_b64 exec, exec, s[52:53]
	v_add_u32_e32 v54, 1, v54
	s_waitcnt lgkmcnt(0)
	v_cmp_le_i32_e32 vcc, s50, v54
	s_or_b64 s[26:27], vcc, s[26:27]
	s_andn2_b64 exec, exec, s[26:27]
	s_cbranch_execz .LBB0_25
.LBB0_10:                               ; =>This Loop Header: Depth=1
                                        ;     Child Loop BB0_19 Depth 2
                                        ;     Child Loop BB0_21 Depth 2
                                        ;     Child Loop BB0_23 Depth 2
	v_mad_i64_i32 v[32:33], s[2:3], v54, s4, v[30:31]
	global_load_dword v0, v[32:33], off offset:72
	s_waitcnt vmcnt(0)
	v_cmp_ne_u32_e32 vcc, v40, v0
	s_and_saveexec_b64 s[52:53], vcc
	s_cbranch_execz .LBB0_9
; %bb.11:                               ;   in Loop: Header=BB0_10 Depth=1
	s_mov_b64 s[2:3], s[24:25]
	s_and_saveexec_b64 s[8:9], s[0:1]
	s_cbranch_execz .LBB0_13
; %bb.12:                               ;   in Loop: Header=BB0_10 Depth=1
	global_load_dword v0, v[32:33], off offset:76
	s_andn2_b64 s[2:3], s[24:25], exec
	s_waitcnt vmcnt(0)
	v_cmp_eq_u32_e32 vcc, 0, v0
	s_and_b64 s[10:11], vcc, exec
	s_or_b64 s[2:3], s[2:3], s[10:11]
.LBB0_13:                               ;   in Loop: Header=BB0_10 Depth=1
	s_or_b64 exec, exec, s[8:9]
	s_and_saveexec_b64 s[54:55], s[2:3]
	s_cbranch_execz .LBB0_8
; %bb.14:                               ;   in Loop: Header=BB0_10 Depth=1
	global_load_dwordx4 v[34:37], v[32:33], off offset:24
	s_waitcnt vmcnt(0)
	v_mul_f64 v[2:3], v[8:9], v[34:35]
	v_cmp_gt_f64_e32 vcc, s[28:29], v[2:3]
	v_cndmask_b32_e64 v42, 0, 1, vcc
	v_lshlrev_b32_e32 v42, 8, v42
	v_ldexp_f64 v[2:3], v[2:3], v42
	v_rsq_f64_e32 v[42:43], v[2:3]
	v_add_f64 v[0:1], v[14:15], v[36:37]
	v_cmp_neq_f64_e64 s[2:3], v[14:15], v[36:37]
	v_cndmask_b32_e32 v46, 0, v56, vcc
	v_mul_f64 v[36:37], v[2:3], v[42:43]
	v_mul_f64 v[42:43], v[42:43], 0.5
	v_fma_f64 v[44:45], -v[42:43], v[36:37], 0.5
	v_fmac_f64_e32 v[36:37], v[36:37], v[44:45]
	v_fmac_f64_e32 v[42:43], v[42:43], v[44:45]
	v_fma_f64 v[44:45], -v[36:37], v[36:37], v[2:3]
	v_fmac_f64_e32 v[36:37], v[44:45], v[42:43]
	v_fma_f64 v[44:45], -v[36:37], v[36:37], v[2:3]
	v_fmac_f64_e32 v[36:37], v[44:45], v[42:43]
	v_ldexp_f64 v[36:37], v[36:37], v46
	v_cmp_class_f64_e32 vcc, v[2:3], v55
	v_mul_f64 v[0:1], v[0:1], 0.5
	v_cndmask_b32_e32 v2, v36, v2, vcc
	v_cndmask_b32_e32 v3, v37, v3, vcc
	v_cmp_neq_f64_e32 vcc, v[8:9], v[34:35]
	v_cndmask_b32_e64 v1, v15, v1, s[2:3]
	v_cndmask_b32_e64 v0, v14, v0, s[2:3]
	v_cndmask_b32_e32 v35, v9, v3, vcc
	v_cndmask_b32_e32 v34, v8, v2, vcc
	v_cmp_neq_f64_e32 vcc, 0, v[0:1]
	v_cmp_neq_f64_e64 s[2:3], 0, v[34:35]
	s_and_b64 s[8:9], vcc, s[2:3]
	s_and_saveexec_b64 s[2:3], s[8:9]
	s_cbranch_execz .LBB0_7
; %bb.15:                               ;   in Loop: Header=BB0_10 Depth=1
	global_load_dwordx4 v[42:45], v[32:33], off
	global_load_dwordx2 v[36:37], v[32:33], off offset:16
	v_readlane_b32 s36, v127, 0
	v_readlane_b32 s37, v127, 1
	s_load_dwordx4 s[60:63], s[36:37], 0x10
	s_load_dwordx16 s[8:23], s[30:31], 0x0
	s_load_dwordx2 s[56:57], s[30:31], 0x40
	s_waitcnt lgkmcnt(0)
	s_load_dwordx16 s[36:51], s[62:63], 0x0
	s_load_dwordx2 s[58:59], s[62:63], 0x40
	s_waitcnt vmcnt(1)
	v_add_f64 v[2:3], v[10:11], -v[42:43]
	v_add_f64 v[48:49], v[12:13], -v[44:45]
	s_waitcnt vmcnt(0)
	v_add_f64 v[50:51], v[6:7], -v[36:37]
	v_fma_f64 v[36:37], s[8:9], v[2:3], 0
	v_fma_f64 v[42:43], s[14:15], v[2:3], 0
	v_fmac_f64_e32 v[36:37], s[10:11], v[48:49]
	v_fma_f64 v[44:45], s[20:21], v[2:3], 0
	v_fmac_f64_e32 v[42:43], s[16:17], v[48:49]
	v_fmac_f64_e32 v[36:37], s[12:13], v[50:51]
	;; [unrolled: 1-line block ×4, first 2 shown]
	v_rndne_f64_e32 v[36:37], v[36:37]
	v_fmac_f64_e32 v[44:45], s[56:57], v[50:51]
	v_rndne_f64_e32 v[42:43], v[42:43]
	s_waitcnt lgkmcnt(0)
	v_fma_f64 v[52:53], v[36:37], s[42:43], 0
	v_rndne_f64_e32 v[44:45], v[44:45]
	v_fma_f64 v[46:47], v[36:37], s[36:37], 0
	v_fmac_f64_e32 v[52:53], s[44:45], v[42:43]
	v_fma_f64 v[36:37], v[36:37], s[48:49], 0
	v_fmac_f64_e32 v[46:47], s[38:39], v[42:43]
	v_fmac_f64_e32 v[52:53], s[46:47], v[44:45]
	;; [unrolled: 1-line block ×4, first 2 shown]
	v_add_f64 v[42:43], v[48:49], -v[52:53]
	v_fmac_f64_e32 v[36:37], s[58:59], v[44:45]
	v_add_f64 v[46:47], v[2:3], -v[46:47]
	v_mul_f64 v[44:45], v[42:43], v[42:43]
	v_add_f64 v[36:37], v[50:51], -v[36:37]
	v_fmac_f64_e32 v[44:45], v[46:47], v[46:47]
	v_fmac_f64_e32 v[44:45], v[36:37], v[36:37]
	v_cmp_gt_f64_e32 vcc, s[28:29], v[44:45]
	v_cndmask_b32_e64 v52, 0, 1, vcc
	v_lshlrev_b32_e32 v52, 8, v52
	v_ldexp_f64 v[52:53], v[44:45], v52
	v_rsq_f64_e32 v[58:59], v[52:53]
	v_cndmask_b32_e32 v57, 0, v56, vcc
	v_cmp_class_f64_e32 vcc, v[52:53], v55
	v_mul_f64 v[60:61], v[52:53], v[58:59]
	v_mul_f64 v[58:59], v[58:59], 0.5
	v_fma_f64 v[62:63], -v[58:59], v[60:61], 0.5
	v_fmac_f64_e32 v[60:61], v[60:61], v[62:63]
	v_fmac_f64_e32 v[58:59], v[58:59], v[62:63]
	v_fma_f64 v[62:63], -v[60:61], v[60:61], v[52:53]
	v_fmac_f64_e32 v[60:61], v[62:63], v[58:59]
	v_fma_f64 v[62:63], -v[60:61], v[60:61], v[52:53]
	v_fmac_f64_e32 v[60:61], v[62:63], v[58:59]
	v_ldexp_f64 v[58:59], v[60:61], v57
	v_cndmask_b32_e32 v53, v59, v53, vcc
	v_cndmask_b32_e32 v52, v58, v52, vcc
	v_cmp_u_f64_e32 vcc, v[52:53], v[52:53]
	s_and_saveexec_b64 s[8:9], vcc
	s_cbranch_execz .LBB0_17
; %bb.16:                               ;   in Loop: Header=BB0_10 Depth=1
	v_mul_f64 v[44:45], v[48:49], v[48:49]
	v_fmac_f64_e32 v[44:45], v[2:3], v[2:3]
	v_fmac_f64_e32 v[44:45], v[50:51], v[50:51]
	v_cmp_gt_f64_e32 vcc, s[28:29], v[44:45]
	v_cndmask_b32_e64 v36, 0, 1, vcc
	v_lshlrev_b32_e32 v36, 8, v36
	v_ldexp_f64 v[36:37], v[44:45], v36
	v_rsq_f64_e32 v[42:43], v[36:37]
	v_mul_f64 v[46:47], v[36:37], v[42:43]
	v_mul_f64 v[42:43], v[42:43], 0.5
	v_fma_f64 v[52:53], -v[42:43], v[46:47], 0.5
	v_fmac_f64_e32 v[46:47], v[46:47], v[52:53]
	v_fmac_f64_e32 v[42:43], v[42:43], v[52:53]
	v_fma_f64 v[52:53], -v[46:47], v[46:47], v[36:37]
	v_fmac_f64_e32 v[46:47], v[52:53], v[42:43]
	v_fma_f64 v[52:53], -v[46:47], v[46:47], v[36:37]
	v_fmac_f64_e32 v[46:47], v[52:53], v[42:43]
	v_cndmask_b32_e32 v42, 0, v56, vcc
	v_ldexp_f64 v[42:43], v[46:47], v42
	v_cmp_class_f64_e32 vcc, v[36:37], v55
	v_cndmask_b32_e32 v53, v43, v37, vcc
	v_cndmask_b32_e32 v52, v42, v36, vcc
	v_pk_mov_b32 v[36:37], v[50:51], v[50:51] op_sel:[0,1]
	v_pk_mov_b32 v[42:43], v[48:49], v[48:49] op_sel:[0,1]
	;; [unrolled: 1-line block ×3, first 2 shown]
.LBB0_17:                               ;   in Loop: Header=BB0_10 Depth=1
	s_or_b64 exec, exec, s[8:9]
	v_readlane_b32 s12, v127, 0
	v_readlane_b32 s13, v127, 1
	s_load_dwordx4 s[8:11], s[12:13], 0x10
	s_waitcnt lgkmcnt(0)
	v_cmp_ge_f64_e32 vcc, s[8:9], v[52:53]
	s_and_saveexec_b64 s[8:9], vcc
	s_load_dword s50, s[12:13], 0x8
	s_cbranch_execz .LBB0_6
; %bb.18:                               ;   in Loop: Header=BB0_10 Depth=1
	global_load_dwordx2 v[2:3], v[32:33], off offset:48
	v_mul_f64 v[0:1], v[0:1], v[0:1]
	v_mul_f64 v[48:49], v[44:45], v[44:45]
	;; [unrolled: 1-line block ×7, first 2 shown]
	v_add_f64 v[50:51], v[50:51], v[50:51]
	v_mul_f64 v[52:53], v[44:45], v[52:53]
	v_div_scale_f64 v[58:59], s[10:11], v[52:53], v[52:53], v[50:51]
	v_rcp_f64_e32 v[60:61], v[58:59]
	v_mul_f64 v[44:45], v[44:45], v[48:49]
	v_div_scale_f64 v[48:49], s[10:11], v[44:45], v[44:45], v[0:1]
	v_fma_f64 v[62:63], -v[58:59], v[60:61], 1.0
	v_fmac_f64_e32 v[60:61], v[60:61], v[62:63]
	v_fma_f64 v[62:63], -v[58:59], v[60:61], 1.0
	v_fmac_f64_e32 v[60:61], v[60:61], v[62:63]
	v_div_scale_f64 v[62:63], vcc, v[50:51], v[52:53], v[50:51]
	v_mul_f64 v[64:65], v[62:63], v[60:61]
	v_fma_f64 v[58:59], -v[58:59], v[64:65], v[62:63]
	v_rcp_f64_e32 v[62:63], v[48:49]
	s_nop 0
	v_div_fmas_f64 v[58:59], v[58:59], v[60:61], v[64:65]
	v_div_fixup_f64 v[50:51], v[58:59], v[52:53], v[50:51]
	s_mov_b64 s[10:11], 0
	v_fma_f64 v[52:53], -v[48:49], v[62:63], 1.0
	v_fmac_f64_e32 v[62:63], v[62:63], v[52:53]
	v_fma_f64 v[52:53], -v[48:49], v[62:63], 1.0
	v_fmac_f64_e32 v[62:63], v[62:63], v[52:53]
	v_div_scale_f64 v[52:53], vcc, v[0:1], v[44:45], v[0:1]
	v_mul_f64 v[58:59], v[52:53], v[62:63]
	v_fma_f64 v[48:49], -v[48:49], v[58:59], v[52:53]
	s_nop 1
	v_div_fmas_f64 v[48:49], v[48:49], v[62:63], v[58:59]
	v_div_fixup_f64 v[0:1], v[48:49], v[44:45], v[0:1]
	v_add_f64 v[48:49], v[50:51], -v[0:1]
	v_mul_f64 v[0:1], v[46:47], s[34:35]
	v_mul_f64 v[0:1], v[34:35], v[0:1]
	;; [unrolled: 1-line block ×3, first 2 shown]
.LBB0_19:                               ;   Parent Loop BB0_10 Depth=1
                                        ; =>  This Inner Loop Header: Depth=2
	s_waitcnt vmcnt(0)
	v_add_f64 v[0:1], v[2:3], -v[44:45]
	global_atomic_cmpswap_x2 v[0:1], v[32:33], v[0:3], off offset:48 glc
	s_waitcnt vmcnt(0)
	v_cmp_eq_u64_e32 vcc, v[0:1], v[2:3]
	s_or_b64 s[10:11], vcc, s[10:11]
	v_pk_mov_b32 v[2:3], v[0:1], v[0:1] op_sel:[0,1]
	s_andn2_b64 exec, exec, s[10:11]
	s_cbranch_execnz .LBB0_19
; %bb.20:                               ;   in Loop: Header=BB0_10 Depth=1
	s_or_b64 exec, exec, s[10:11]
	global_load_dwordx2 v[2:3], v[32:33], off offset:56
	v_mul_f64 v[0:1], v[42:43], s[34:35]
	v_mul_f64 v[0:1], v[34:35], v[0:1]
	;; [unrolled: 1-line block ×3, first 2 shown]
	s_mov_b64 s[10:11], 0
.LBB0_21:                               ;   Parent Loop BB0_10 Depth=1
                                        ; =>  This Inner Loop Header: Depth=2
	s_waitcnt vmcnt(0)
	v_add_f64 v[0:1], v[2:3], -v[42:43]
	global_atomic_cmpswap_x2 v[0:1], v[32:33], v[0:3], off offset:56 glc
	s_waitcnt vmcnt(0)
	v_cmp_eq_u64_e32 vcc, v[0:1], v[2:3]
	s_or_b64 s[10:11], vcc, s[10:11]
	v_pk_mov_b32 v[2:3], v[0:1], v[0:1] op_sel:[0,1]
	s_andn2_b64 exec, exec, s[10:11]
	s_cbranch_execnz .LBB0_21
; %bb.22:                               ;   in Loop: Header=BB0_10 Depth=1
	s_or_b64 exec, exec, s[10:11]
	global_load_dwordx2 v[2:3], v[32:33], off offset:64
	v_mul_f64 v[0:1], v[36:37], s[34:35]
	v_mul_f64 v[0:1], v[34:35], v[0:1]
	;; [unrolled: 1-line block ×3, first 2 shown]
	s_mov_b64 s[10:11], 0
.LBB0_23:                               ;   Parent Loop BB0_10 Depth=1
                                        ; =>  This Inner Loop Header: Depth=2
	s_waitcnt vmcnt(0)
	v_add_f64 v[0:1], v[2:3], -v[34:35]
	global_atomic_cmpswap_x2 v[0:1], v[32:33], v[0:3], off offset:64 glc
	s_waitcnt vmcnt(0)
	v_cmp_eq_u64_e32 vcc, v[0:1], v[2:3]
	s_or_b64 s[10:11], vcc, s[10:11]
	v_pk_mov_b32 v[2:3], v[0:1], v[0:1] op_sel:[0,1]
	s_andn2_b64 exec, exec, s[10:11]
	s_cbranch_execnz .LBB0_23
; %bb.24:                               ;   in Loop: Header=BB0_10 Depth=1
	s_or_b64 exec, exec, s[10:11]
	v_add_f64 v[26:27], v[26:27], v[42:43]
	v_add_f64 v[28:29], v[28:29], v[44:45]
	;; [unrolled: 1-line block ×3, first 2 shown]
	s_branch .LBB0_6
.LBB0_25:
	s_or_b64 exec, exec, s[26:27]
	s_mov_b32 s2, s5
.LBB0_26:
	s_or_b64 exec, exec, s[6:7]
	global_load_dwordx2 v[2:3], v[38:39], off offset:48
	s_mov_b64 s[0:1], 0
.LBB0_27:                               ; =>This Inner Loop Header: Depth=1
	s_waitcnt vmcnt(0)
	v_add_f64 v[0:1], v[2:3], v[28:29]
	global_atomic_cmpswap_x2 v[0:1], v[38:39], v[0:3], off offset:48 glc
	s_waitcnt vmcnt(0)
	v_cmp_eq_u64_e32 vcc, v[0:1], v[2:3]
	s_or_b64 s[0:1], vcc, s[0:1]
	v_pk_mov_b32 v[2:3], v[0:1], v[0:1] op_sel:[0,1]
	s_andn2_b64 exec, exec, s[0:1]
	s_cbranch_execnz .LBB0_27
; %bb.28:
	s_or_b64 exec, exec, s[0:1]
	global_load_dwordx2 v[2:3], v[38:39], off offset:56
	s_mov_b64 s[0:1], 0
.LBB0_29:                               ; =>This Inner Loop Header: Depth=1
	s_waitcnt vmcnt(0)
	v_add_f64 v[0:1], v[2:3], v[26:27]
	global_atomic_cmpswap_x2 v[0:1], v[38:39], v[0:3], off offset:56 glc
	s_waitcnt vmcnt(0)
	v_cmp_eq_u64_e32 vcc, v[0:1], v[2:3]
	s_or_b64 s[0:1], vcc, s[0:1]
	v_pk_mov_b32 v[2:3], v[0:1], v[0:1] op_sel:[0,1]
	s_andn2_b64 exec, exec, s[0:1]
	s_cbranch_execnz .LBB0_29
; %bb.30:
	;; [unrolled: 14-line block ×3, first 2 shown]
	s_or_b64 exec, exec, s[0:1]
	s_add_i32 s0, s2, -1
	s_cmp_gt_u32 s0, 1
	s_cbranch_scc1 .LBB0_3
.LBB0_33:
	s_mov_b32 s25, 0
	s_mov_b32 s24, s25
	;; [unrolled: 1-line block ×6, first 2 shown]
	v_pk_mov_b32 v[0:1], s[24:25], s[24:25] op_sel:[0,1]
	v_writelane_b32 v127, s2, 9
	s_cmp_lt_i32 s50, 1
	v_pk_mov_b32 v[2:3], s[26:27], s[26:27] op_sel:[0,1]
	v_pk_mov_b32 v[4:5], s[28:29], s[28:29] op_sel:[0,1]
	s_cbranch_scc1 .LBB0_83
; %bb.34:
	v_readlane_b32 s4, v127, 0
	v_readlane_b32 s5, v127, 1
	s_load_dwordx4 s[0:3], s[4:5], 0x10
	s_load_dwordx4 s[56:59], s[4:5], 0x30
	s_mov_b32 s68, 0x652b82fe
	s_mov_b32 s70, 0xfefa39ef
	;; [unrolled: 1-line block ×3, first 2 shown]
	s_waitcnt lgkmcnt(0)
	s_load_dwordx16 s[8:23], s[2:3], 0x0
	s_load_dwordx2 s[0:1], s[2:3], 0x40
	s_cmp_lg_u32 s59, 0
	s_mov_b32 s76, 0x6a5dcb37
	s_mov_b32 s94, 0
	s_waitcnt lgkmcnt(0)
	v_pk_mov_b32 v[0:1], s[18:19], s[18:19] op_sel:[0,1]
	v_pk_mov_b32 v[2:3], s[0:1], s[0:1] op_sel:[0,1]
	;; [unrolled: 1-line block ×3, first 2 shown]
	v_mul_f64 v[0:1], s[22:23], v[0:1]
	s_waitcnt vmcnt(5)
	v_mul_f64 v[8:9], s[0:1], v[4:5]
	v_fma_f64 v[0:1], s[16:17], v[2:3], -v[0:1]
	v_pk_mov_b32 v[2:3], s[12:13], s[12:13] op_sel:[0,1]
	v_fma_f64 v[8:9], s[22:23], v[2:3], -v[8:9]
	v_mul_f64 v[8:9], s[14:15], v[8:9]
	v_fmac_f64_e32 v[8:9], s[8:9], v[0:1]
	v_mul_f64 v[0:1], s[18:19], v[2:3]
	v_fma_f64 v[0:1], s[18:19], v[4:5], -v[0:1]
	v_fmac_f64_e32 v[8:9], s[20:21], v[0:1]
	v_div_scale_f64 v[0:1], s[0:1], v[8:9], v[8:9], 1.0
	v_rcp_f64_e32 v[2:3], v[0:1]
	s_cselect_b64 s[0:1], -1, 0
	v_writelane_b32 v127, s0, 10
	s_cmp_gt_i32 s58, -1
	v_fma_f64 v[4:5], -v[0:1], v[2:3], 1.0
	v_fmac_f64_e32 v[2:3], v[2:3], v[4:5]
	v_fma_f64 v[4:5], -v[0:1], v[2:3], 1.0
	v_fmac_f64_e32 v[2:3], v[2:3], v[4:5]
	v_div_scale_f64 v[4:5], vcc, 1.0, v[8:9], 1.0
	s_waitcnt vmcnt(3)
	v_mul_f64 v[14:15], v[4:5], v[2:3]
	v_fma_f64 v[0:1], -v[0:1], v[14:15], v[4:5]
	v_writelane_b32 v127, s1, 11
	v_div_fmas_f64 v[0:1], v[0:1], v[2:3], v[14:15]
	v_div_fixup_f64 v[0:1], v[0:1], v[8:9], 1.0
	buffer_store_dword v0, off, s[96:99], 0 ; 4-byte Folded Spill
	s_nop 0
	buffer_store_dword v1, off, s[96:99], 0 offset:4 ; 4-byte Folded Spill
	v_mul_f64 v[0:1], s[56:57], 4.0
	v_mul_f64 v[42:43], v[0:1], s[56:57]
	v_mov_b32_e32 v0, 0x37cfa789
	v_mov_b32_e32 v1, 0xbe411663
	buffer_store_dword v0, off, s[96:99], 0 offset:8 ; 4-byte Folded Spill
	s_nop 0
	buffer_store_dword v1, off, s[96:99], 0 offset:12 ; 4-byte Folded Spill
	v_mov_b32_e32 v0, 0xd9802b82
	v_mov_b32_e32 v1, 0x3e7b45f1
	buffer_store_dword v0, off, s[96:99], 0 offset:16 ; 4-byte Folded Spill
	s_nop 0
	buffer_store_dword v1, off, s[96:99], 0 offset:20 ; 4-byte Folded Spill
	;; [unrolled: 5-line block ×16, first 2 shown]
	s_cselect_b64 s[0:1], -1, 0
	v_mov_b32_e32 v0, 0x3c3dbeb3
	v_mov_b32_e32 v1, 0xbfb9ddb2
	v_cmp_eq_f64_e32 vcc, 0, v[16:17]
	v_writelane_b32 v127, s0, 12
	buffer_store_dword v0, off, s[96:99], 0 offset:136 ; 4-byte Folded Spill
	s_nop 0
	buffer_store_dword v1, off, s[96:99], 0 offset:140 ; 4-byte Folded Spill
	v_writelane_b32 v127, s1, 13
	s_xor_b64 s[0:1], vcc, -1
	v_mul_f64 v[0:1], -s[56:57], s[56:57]
	v_writelane_b32 v127, s0, 14
	buffer_store_dword v0, off, s[96:99], 0 offset:144 ; 4-byte Folded Spill
	s_nop 0
	buffer_store_dword v1, off, s[96:99], 0 offset:148 ; 4-byte Folded Spill
	v_writelane_b32 v127, s1, 15
	s_movk_i32 s0, 0xff80
	s_mov_b32 s1, 0x402921fb
	v_pk_mov_b32 v[0:1], s[24:25], s[24:25] op_sel:[0,1]
	s_mov_b32 s74, 0
	v_writelane_b32 v127, s0, 16
	s_mov_b32 s88, 0x54442d18
	s_mov_b32 s82, 0
	s_mov_b32 s84, 0
	s_mov_b32 s86, 0
	s_mov_b32 s66, 0x6dc9c883
	s_mov_b32 s60, 0x33145c00
	v_pk_mov_b32 v[2:3], s[26:27], s[26:27] op_sel:[0,1]
	v_pk_mov_b32 v[4:5], s[28:29], s[28:29] op_sel:[0,1]
	s_mov_b32 s26, 0x252049c0
	s_mov_b32 s28, 0x46cc5e42
	;; [unrolled: 1-line block ×4, first 2 shown]
	s_waitcnt vmcnt(40)
	v_cmp_ne_u32_e64 s[62:63], 0, v41
	v_cmp_neq_f64_e64 s[54:55], 0, v[16:17]
	s_sub_i32 s59, 0, s58
	s_mul_i32 s33, s58, s58
	s_mov_b32 s69, 0x3ff71547
	s_mov_b32 s71, 0xbfe62e42
	;; [unrolled: 1-line block ×6, first 2 shown]
	v_writelane_b32 v127, s1, 17
	s_mov_b32 s89, 0x401921fb
	s_mov_b32 s83, 0x41d00000
	;; [unrolled: 1-line block ×10, first 2 shown]
	s_movk_i32 s1, 0x1f8
	v_mov_b32_e32 v78, 0xfcfa6930
	v_mov_b32_e32 v79, 0x3fb16ece
	v_mov_b32_e32 v80, 0xf66fb8a3
	v_mov_b32_e32 v81, 0x3f8f7f5d
	v_mov_b32_e32 v82, 0xd154a2a8
	v_mov_b32_e32 v83, 0xbfc1df1a
	v_mov_b32_e32 v84, 0xb74febf8
	v_mov_b32_e32 v85, 0x3fcdd2c8
	v_mov_b32_e32 v86, 0xfca7ab0c
	v_mov_b32_e32 v87, 0x3e928af3
	v_mov_b32_e32 v88, 0x623fde64
	v_mov_b32_e32 v89, 0x3ec71dee
	v_mov_b32_e32 v90, 0x7c89e6b0
	v_mov_b32_e32 v91, 0x3efa0199
	v_mov_b32_e32 v92, 0x14761f6e
	v_mov_b32_e32 v93, 0x3f2a01a0
	v_mov_b32_e32 v94, 0x1852b7b0
	v_mov_b32_e32 v95, 0x3f56c16c
	v_mov_b32_e32 v96, 0x11122322
	v_mov_b32_e32 v97, 0x3f811111
	v_mov_b32_e32 v98, 0x555502a1
	v_mov_b32_e32 v99, 0x3fa55555
	v_mov_b32_e32 v100, 0x55555511
	v_mov_b32_e32 v101, 0x3fc55555
	v_mov_b32_e32 v102, 11
	v_mov_b32_e32 v103, 0x3fe00000
	v_mov_b32_e32 v104, 0x9037ab78
	v_mov_b32_e32 v105, 0x3e21eeb6
	v_mov_b32_e32 v106, 0xa17f65f6
	v_mov_b32_e32 v107, 0xbe927e4f
	v_mov_b32_e32 v108, 0x19f4ec90
	v_mov_b32_e32 v109, 0x3efa01a0
	v_mov_b32_e32 v110, 0x16c16967
	v_mov_b32_e32 v111, 0xbf56c16c
	v_mov_b32_e32 v112, 0xb42fdfa7
	v_mov_b32_e32 v113, 0xbe5ae600
	v_mov_b32_e32 v114, 0x796cde01
	v_mov_b32_e32 v115, 0x3ec71de3
	v_mov_b32_e32 v116, 0x19e83e5c
	v_mov_b32_e32 v117, 0xbf2a01a0
	v_mov_b32_e32 v41, 0x260
	v_mov_b32_e32 v54, 0xffffff80
	v_mov_b32_e32 v55, 0x7ff00000
	v_mov_b32_e32 v56, 0x40100000
	v_mov_b32_e32 v57, 0x3ff00000
	v_mov_b32_e32 v58, 0x7ff80000
	v_mov_b32_e32 v120, 0
	v_mov_b32_e32 v122, 0x55555555
	v_mov_b32_e32 v124, 0x11110bb3
	s_movk_i32 s24, 0x70
	s_mov_b32 s27, 0xb97b839a
	s_mov_b32 s29, 0xbda907db
	;; [unrolled: 1-line block ×5, first 2 shown]
	s_branch .LBB0_39
.LBB0_35:                               ;   in Loop: Header=BB0_39 Depth=1
	s_movk_i32 s24, 0x70
.LBB0_36:                               ;   in Loop: Header=BB0_39 Depth=1
	s_or_b64 exec, exec, s[36:37]
.LBB0_37:                               ;   in Loop: Header=BB0_39 Depth=1
	v_readlane_b32 s4, v127, 20
	v_readlane_b32 s5, v127, 21
	s_or_b64 exec, exec, s[4:5]
.LBB0_38:                               ;   in Loop: Header=BB0_39 Depth=1
	v_readlane_b32 s4, v127, 18
	v_readlane_b32 s5, v127, 19
	s_or_b64 exec, exec, s[4:5]
	s_add_i32 s34, s34, 1
	s_waitcnt lgkmcnt(0)
	s_cmp_eq_u32 s34, s50
	s_cbranch_scc1 .LBB0_83
.LBB0_39:                               ; =>This Loop Header: Depth=1
                                        ;     Child Loop BB0_52 Depth 2
                                        ;     Child Loop BB0_54 Depth 2
	;; [unrolled: 1-line block ×4, first 2 shown]
                                        ;       Child Loop BB0_68 Depth 3
                                        ;         Child Loop BB0_72 Depth 4
                                        ;           Child Loop BB0_75 Depth 5
                                        ;             Child Loop BB0_81 Depth 6
	s_mov_b64 s[6:7], 0
	s_and_saveexec_b64 s[8:9], s[62:63]
	s_xor_b64 s[8:9], exec, s[8:9]
	s_cbranch_execz .LBB0_41
; %bb.40:                               ;   in Loop: Header=BB0_39 Depth=1
	s_mul_i32 s6, s34, 0x70
	v_readlane_b32 s4, v127, 6
	s_mul_hi_u32 s7, s34, 0x70
	v_readlane_b32 s5, v127, 7
	s_add_u32 s6, s4, s6
	s_addc_u32 s7, s5, s7
	global_load_dword v8, v120, s[6:7] offset:76
	v_readlane_b32 s4, v127, 14
	v_readlane_b32 s5, v127, 15
	s_mov_b32 s35, s25
	s_waitcnt vmcnt(0)
	v_cmp_eq_u32_e32 vcc, 0, v8
	s_and_b64 s[6:7], vcc, s[4:5]
	s_and_b64 s[6:7], s[6:7], exec
.LBB0_41:                               ;   in Loop: Header=BB0_39 Depth=1
	s_or_saveexec_b64 s[8:9], s[8:9]
	v_pk_mov_b32 v[14:15], s[34:35], s[34:35] op_sel:[0,1]
	s_xor_b64 exec, exec, s[8:9]
	s_cbranch_execz .LBB0_45
; %bb.42:                               ;   in Loop: Header=BB0_39 Depth=1
	s_mov_b64 s[10:11], s[6:7]
	s_and_saveexec_b64 s[12:13], s[54:55]
; %bb.43:                               ;   in Loop: Header=BB0_39 Depth=1
	s_mov_b32 s35, s25
	s_or_b64 s[10:11], s[6:7], exec
; %bb.44:                               ;   in Loop: Header=BB0_39 Depth=1
	s_or_b64 exec, exec, s[12:13]
	s_andn2_b64 s[6:7], s[6:7], exec
	s_and_b64 s[10:11], s[10:11], exec
	v_pk_mov_b32 v[14:15], s[34:35], s[34:35] op_sel:[0,1]
	s_or_b64 s[6:7], s[6:7], s[10:11]
.LBB0_45:                               ;   in Loop: Header=BB0_39 Depth=1
	s_or_b64 exec, exec, s[8:9]
	s_mov_b64 s[4:5], exec
	v_writelane_b32 v127, s4, 18
	v_writelane_b32 v127, s5, 19
	s_and_b64 s[6:7], s[4:5], s[6:7]
	s_mov_b64 exec, s[6:7]
	s_cbranch_execz .LBB0_38
; %bb.46:                               ;   in Loop: Header=BB0_39 Depth=1
	v_readlane_b32 s6, v127, 6
	v_readlane_b32 s7, v127, 7
	v_pk_mov_b32 v[8:9], s[6:7], s[6:7] op_sel:[0,1]
	v_mad_u64_u32 v[8:9], s[6:7], v14, s24, v[8:9]
	v_mov_b32_e32 v14, v9
	v_mad_u64_u32 v[14:15], s[6:7], v15, s24, v[14:15]
	v_mov_b32_e32 v9, v14
	global_load_dwordx2 v[28:29], v[8:9], off offset:40
	v_cmp_ne_u32_e64 s[6:7], s34, v126
	s_waitcnt vmcnt(0)
	v_cmp_neq_f64_e32 vcc, 0, v[28:29]
	s_and_b64 s[6:7], s[6:7], vcc
	s_mov_b64 s[4:5], exec
	v_writelane_b32 v127, s4, 20
	v_writelane_b32 v127, s5, 21
	s_and_b64 s[6:7], s[4:5], s[6:7]
	s_mov_b64 exec, s[6:7]
	s_cbranch_execz .LBB0_37
; %bb.47:                               ;   in Loop: Header=BB0_39 Depth=1
	global_load_dwordx4 v[32:35], v[8:9], off
	global_load_dwordx2 v[14:15], v[8:9], off offset:16
	v_readlane_b32 s36, v127, 0
	v_readlane_b32 s37, v127, 1
	s_mov_b64 s[4:5], s[54:55]
	s_load_dwordx4 s[52:55], s[36:37], 0x10
	s_load_dwordx16 s[8:23], s[30:31], 0x0
	s_load_dwordx2 s[6:7], s[30:31], 0x40
	s_waitcnt lgkmcnt(0)
	s_load_dwordx16 s[36:51], s[54:55], 0x0
	s_load_dwordx2 vcc, s[54:55], 0x40
	s_waitcnt vmcnt(1)
	v_add_f64 v[32:33], v[10:11], -v[32:33]
	v_add_f64 v[34:35], v[12:13], -v[34:35]
	s_waitcnt vmcnt(0)
	v_add_f64 v[36:37], v[6:7], -v[14:15]
	v_fma_f64 v[14:15], s[8:9], v[32:33], 0
	v_fma_f64 v[26:27], s[14:15], v[32:33], 0
	v_fmac_f64_e32 v[14:15], s[10:11], v[34:35]
	v_fma_f64 v[30:31], s[20:21], v[32:33], 0
	v_fmac_f64_e32 v[26:27], s[16:17], v[34:35]
	v_fmac_f64_e32 v[14:15], s[12:13], v[36:37]
	;; [unrolled: 1-line block ×4, first 2 shown]
	v_rndne_f64_e32 v[14:15], v[14:15]
	v_fmac_f64_e32 v[30:31], s[6:7], v[36:37]
	v_rndne_f64_e32 v[26:27], v[26:27]
	s_waitcnt lgkmcnt(0)
	v_fma_f64 v[46:47], v[14:15], s[42:43], 0
	v_rndne_f64_e32 v[30:31], v[30:31]
	v_fma_f64 v[44:45], v[14:15], s[36:37], 0
	v_fmac_f64_e32 v[46:47], s[44:45], v[26:27]
	v_fma_f64 v[48:49], v[14:15], s[48:49], 0
	v_fmac_f64_e32 v[44:45], s[38:39], v[26:27]
	v_fmac_f64_e32 v[46:47], s[46:47], v[30:31]
	;; [unrolled: 1-line block ×4, first 2 shown]
	v_add_f64 v[14:15], v[34:35], -v[46:47]
	v_fmac_f64_e32 v[48:49], vcc, v[30:31]
	v_add_f64 v[44:45], v[32:33], -v[44:45]
	v_mul_f64 v[26:27], v[14:15], v[14:15]
	v_add_f64 v[118:119], v[36:37], -v[48:49]
	v_fmac_f64_e32 v[26:27], v[44:45], v[44:45]
	s_mov_b32 s6, 0
	v_fmac_f64_e32 v[26:27], v[118:119], v[118:119]
	s_brev_b32 s7, 8
	v_cmp_gt_f64_e32 vcc, s[6:7], v[26:27]
	v_cndmask_b32_e64 v30, 0, 1, vcc
	v_lshlrev_b32_e32 v30, 8, v30
	v_ldexp_f64 v[30:31], v[26:27], v30
	v_rsq_f64_e32 v[46:47], v[30:31]
	v_cndmask_b32_e32 v52, 0, v54, vcc
	v_cmp_class_f64_e32 vcc, v[30:31], v41
	v_mul_f64 v[48:49], v[30:31], v[46:47]
	v_mul_f64 v[46:47], v[46:47], 0.5
	v_fma_f64 v[50:51], -v[46:47], v[48:49], 0.5
	v_fmac_f64_e32 v[48:49], v[48:49], v[50:51]
	v_fmac_f64_e32 v[46:47], v[46:47], v[50:51]
	v_fma_f64 v[50:51], -v[48:49], v[48:49], v[30:31]
	v_fmac_f64_e32 v[48:49], v[50:51], v[46:47]
	v_fma_f64 v[50:51], -v[48:49], v[48:49], v[30:31]
	v_fmac_f64_e32 v[48:49], v[50:51], v[46:47]
	v_ldexp_f64 v[46:47], v[48:49], v52
	v_cndmask_b32_e32 v31, v47, v31, vcc
	v_cndmask_b32_e32 v30, v46, v30, vcc
	v_cmp_u_f64_e32 vcc, v[30:31], v[30:31]
	s_and_saveexec_b64 s[6:7], vcc
	s_cbranch_execz .LBB0_49
; %bb.48:                               ;   in Loop: Header=BB0_39 Depth=1
	v_mul_f64 v[26:27], v[34:35], v[34:35]
	v_fmac_f64_e32 v[26:27], v[32:33], v[32:33]
	s_mov_b32 s8, 0
	v_fmac_f64_e32 v[26:27], v[36:37], v[36:37]
	s_brev_b32 s9, 8
	v_cmp_gt_f64_e32 vcc, s[8:9], v[26:27]
	v_cndmask_b32_e64 v14, 0, 1, vcc
	v_lshlrev_b32_e32 v14, 8, v14
	v_ldexp_f64 v[14:15], v[26:27], v14
	v_rsq_f64_e32 v[30:31], v[14:15]
	v_pk_mov_b32 v[118:119], v[36:37], v[36:37] op_sel:[0,1]
	v_mul_f64 v[44:45], v[14:15], v[30:31]
	v_mul_f64 v[30:31], v[30:31], 0.5
	v_fma_f64 v[46:47], -v[30:31], v[44:45], 0.5
	v_fmac_f64_e32 v[44:45], v[44:45], v[46:47]
	v_fmac_f64_e32 v[30:31], v[30:31], v[46:47]
	v_fma_f64 v[46:47], -v[44:45], v[44:45], v[14:15]
	v_fmac_f64_e32 v[44:45], v[46:47], v[30:31]
	v_fma_f64 v[46:47], -v[44:45], v[44:45], v[14:15]
	v_fmac_f64_e32 v[44:45], v[46:47], v[30:31]
	v_cndmask_b32_e32 v30, 0, v54, vcc
	v_ldexp_f64 v[30:31], v[44:45], v30
	v_cmp_class_f64_e32 vcc, v[14:15], v41
	v_cndmask_b32_e32 v31, v31, v15, vcc
	v_cndmask_b32_e32 v30, v30, v14, vcc
	v_pk_mov_b32 v[14:15], v[34:35], v[34:35] op_sel:[0,1]
	v_pk_mov_b32 v[44:45], v[32:33], v[32:33] op_sel:[0,1]
.LBB0_49:                               ;   in Loop: Header=BB0_39 Depth=1
	s_or_b64 exec, exec, s[6:7]
	v_readlane_b32 s12, v127, 0
	v_readlane_b32 s13, v127, 1
	s_load_dwordx4 s[8:11], s[12:13], 0x10
	s_waitcnt lgkmcnt(0)
	v_cmp_ge_f64_e32 vcc, s[8:9], v[30:31]
	s_and_saveexec_b64 s[8:9], vcc
	s_load_dword s50, s[12:13], 0x8
	s_mov_b64 s[54:55], s[4:5]
	s_cbranch_execz .LBB0_59
; %bb.50:                               ;   in Loop: Header=BB0_39 Depth=1
	global_load_dword v32, v[8:9], off offset:72
	s_waitcnt vmcnt(0)
	v_cmp_lt_i32_e32 vcc, v40, v32
	s_and_saveexec_b64 s[10:11], vcc
	s_cbranch_execz .LBB0_58
; %bb.51:                               ;   in Loop: Header=BB0_39 Depth=1
	v_div_scale_f64 v[32:33], s[6:7], v[30:31], v[30:31], v[44:45]
	v_rcp_f64_e32 v[34:35], v[32:33]
	s_mov_b32 s4, 0xfca7ab0c
	s_mov_b32 s5, 0x3e928af3
	v_pk_mov_b32 v[50:51], s[4:5], s[4:5] op_sel:[0,1]
	v_fma_f64 v[36:37], -v[32:33], v[34:35], 1.0
	v_fmac_f64_e32 v[34:35], v[34:35], v[36:37]
	v_fma_f64 v[36:37], -v[32:33], v[34:35], 1.0
	v_fmac_f64_e32 v[34:35], v[34:35], v[36:37]
	v_div_scale_f64 v[36:37], vcc, v[44:45], v[30:31], v[44:45]
	v_mul_f64 v[46:47], v[36:37], v[34:35]
	v_fma_f64 v[32:33], -v[32:33], v[46:47], v[36:37]
	buffer_load_dword v36, off, s[96:99], 0 offset:144 ; 4-byte Folded Reload
	buffer_load_dword v37, off, s[96:99], 0 offset:148 ; 4-byte Folded Reload
	v_div_fmas_f64 v[32:33], v[32:33], v[34:35], v[46:47]
	s_mov_b32 s4, 0x623fde64
	s_mov_b32 s5, 0x3ec71dee
	;; [unrolled: 1-line block ×16, first 2 shown]
	v_mul_f64 v[28:29], v[28:29], v[16:17]
	v_div_fixup_f64 v[34:35], v[32:33], v[30:31], v[44:45]
	v_mul_f64 v[32:33], v[28:29], -2.0
	v_mul_f64 v[32:33], v[32:33], s[56:57]
	s_waitcnt vmcnt(0)
	v_mul_f64 v[36:37], v[36:37], v[26:27]
	v_mul_f64 v[46:47], v[36:37], s[68:69]
	v_rndne_f64_e32 v[46:47], v[46:47]
	v_fma_f64 v[48:49], s[70:71], v[46:47], v[36:37]
	v_fmac_f64_e32 v[48:49], s[72:73], v[46:47]
	v_fma_f64 v[52:53], s[76:77], v[48:49], v[50:51]
	v_fma_f64 v[52:53], v[48:49], v[52:53], s[4:5]
	;; [unrolled: 1-line block ×9, first 2 shown]
	v_fma_f64 v[52:53], v[48:49], v[52:53], 1.0
	v_fma_f64 v[48:49], v[48:49], v[52:53], 1.0
	v_cvt_i32_f64_e32 v46, v[46:47]
	v_ldexp_f64 v[46:47], v[48:49], v46
	v_cmp_nlt_f64_e32 vcc, s[94:95], v[36:37]
	v_cndmask_b32_e32 v47, v55, v47, vcc
	v_cmp_ngt_f64_e64 s[6:7], s[74:75], v[36:37]
	s_and_b64 vcc, s[6:7], vcc
	v_cndmask_b32_e64 v37, 0, v47, s[6:7]
	s_mov_b32 s6, 0x91b4ef6a
	v_cndmask_b32_e32 v36, 0, v46, vcc
	s_mov_b32 s7, 0x3ffc5bf8
	v_mul_f64 v[32:33], v[36:37], v[32:33]
	v_mul_f64 v[36:37], v[30:31], s[6:7]
	v_div_scale_f64 v[46:47], s[6:7], v[36:37], v[36:37], v[32:33]
	v_rcp_f64_e32 v[48:49], v[46:47]
	v_fma_f64 v[52:53], -v[46:47], v[48:49], 1.0
	v_fmac_f64_e32 v[48:49], v[48:49], v[52:53]
	v_fma_f64 v[52:53], -v[46:47], v[48:49], 1.0
	v_fmac_f64_e32 v[48:49], v[48:49], v[52:53]
	v_div_scale_f64 v[52:53], vcc, v[32:33], v[36:37], v[32:33]
	v_mul_f64 v[60:61], v[52:53], v[48:49]
	v_fma_f64 v[46:47], -v[46:47], v[60:61], v[52:53]
	s_nop 1
	v_div_fmas_f64 v[46:47], v[46:47], v[48:49], v[60:61]
	v_div_fixup_f64 v[32:33], v[46:47], v[36:37], v[32:33]
	v_mul_f64 v[36:37], v[30:31], s[56:57]
	v_mul_f64 v[46:47], v[36:37], -v[36:37]
	v_mul_f64 v[52:53], v[46:47], s[68:69]
	v_rndne_f64_e32 v[52:53], v[52:53]
	v_fma_f64 v[60:61], s[70:71], v[52:53], v[46:47]
	v_fmac_f64_e32 v[60:61], s[72:73], v[52:53]
	v_fmac_f64_e32 v[50:51], s[76:77], v[60:61]
	v_fma_f64 v[50:51], v[60:61], v[50:51], s[4:5]
	v_fma_f64 v[50:51], v[60:61], v[50:51], s[12:13]
	;; [unrolled: 1-line block ×8, first 2 shown]
	v_fma_f64 v[50:51], v[60:61], v[50:51], 1.0
	v_fma_f64 v[50:51], v[60:61], v[50:51], 1.0
	v_cvt_i32_f64_e32 v52, v[52:53]
	v_ldexp_f64 v[50:51], v[50:51], v52
	v_cmp_nlt_f64_e32 vcc, s[94:95], v[46:47]
	v_cmp_ngt_f64_e64 s[6:7], s[74:75], v[46:47]
	v_cndmask_b32_e32 v51, v55, v51, vcc
	s_and_b64 vcc, s[6:7], vcc
	v_fma_f64 v[48:49], -v[36:37], v[36:37], -v[46:47]
	v_cndmask_b32_e32 v46, 0, v50, vcc
	v_cndmask_b32_e64 v47, 0, v51, s[6:7]
	v_add_f64 v[50:51], |v[36:37]|, 4.0
	v_rcp_f64_e32 v[52:53], v[50:51]
	v_fmac_f64_e32 v[46:47], v[46:47], v[48:49]
	v_add_f64 v[48:49], |v[36:37]|, -4.0
	s_mov_b32 s4, 0x54df3c0e
	v_fma_f64 v[60:61], -v[50:51], v[52:53], 1.0
	v_fmac_f64_e32 v[52:53], v[60:61], v[52:53]
	v_fma_f64 v[50:51], -v[50:51], v[52:53], 1.0
	v_fmac_f64_e32 v[52:53], v[50:51], v[52:53]
	v_mul_f64 v[48:49], v[48:49], v[52:53]
	v_add_f64 v[50:51], v[48:49], 1.0
	v_fma_f64 v[50:51], v[50:51], -4.0, |v[36:37]|
	v_fma_f64 v[50:51], -v[48:49], |v[36:37]|, v[50:51]
	v_fmac_f64_e32 v[48:49], v[52:53], v[50:51]
	buffer_load_dword v50, off, s[96:99], 0 offset:8 ; 4-byte Folded Reload
	buffer_load_dword v51, off, s[96:99], 0 offset:12 ; 4-byte Folded Reload
	;; [unrolled: 1-line block ×4, first 2 shown]
	s_mov_b32 s5, 0xbe41f39d
	s_waitcnt vmcnt(2)
	v_fmac_f64_e32 v[50:51], s[4:5], v[48:49]
	s_waitcnt vmcnt(0)
	v_fmac_f64_e32 v[52:53], v[48:49], v[50:51]
	buffer_load_dword v50, off, s[96:99], 0 offset:24 ; 4-byte Folded Reload
	buffer_load_dword v51, off, s[96:99], 0 offset:28 ; 4-byte Folded Reload
	s_mov_b32 s4, 0x41e48bfc
	s_mov_b32 s5, 0x403b39dc
	v_cmp_ngt_f64_e64 vcc, |v[36:37]|, s[4:5]
	s_waitcnt vmcnt(0)
	v_fmac_f64_e32 v[50:51], v[48:49], v[52:53]
	buffer_load_dword v52, off, s[96:99], 0 offset:32 ; 4-byte Folded Reload
	buffer_load_dword v53, off, s[96:99], 0 offset:36 ; 4-byte Folded Reload
	s_waitcnt vmcnt(0)
	v_fmac_f64_e32 v[52:53], v[48:49], v[50:51]
	buffer_load_dword v50, off, s[96:99], 0 offset:40 ; 4-byte Folded Reload
	buffer_load_dword v51, off, s[96:99], 0 offset:44 ; 4-byte Folded Reload
	;; [unrolled: 4-line block ×14, first 2 shown]
	s_waitcnt vmcnt(0)
	v_fmac_f64_e32 v[50:51], v[48:49], v[52:53]
	v_pk_mov_b32 v[52:53], v[78:79], v[78:79] op_sel:[0,1]
	v_fmac_f64_e32 v[52:53], v[48:49], v[50:51]
	v_pk_mov_b32 v[50:51], v[80:81], v[80:81] op_sel:[0,1]
	;; [unrolled: 2-line block ×4, first 2 shown]
	v_fmac_f64_e32 v[50:51], v[48:49], v[52:53]
	v_add_f64 v[48:49], |v[36:37]|, |v[36:37]|
	v_add_f64 v[52:53], v[48:49], 1.0
	v_rcp_f64_e32 v[60:61], v[52:53]
	v_fma_f64 v[62:63], -v[52:53], v[60:61], 1.0
	v_fmac_f64_e32 v[60:61], v[62:63], v[60:61]
	v_fma_f64 v[52:53], -v[52:53], v[60:61], 1.0
	v_fmac_f64_e32 v[60:61], v[52:53], v[60:61]
	v_fma_f64 v[52:53], v[50:51], v[60:61], v[60:61]
	v_fma_f64 v[48:49], -v[52:53], v[48:49], 1.0
	v_add_f64 v[50:51], v[50:51], -v[52:53]
	v_add_f64 v[48:49], v[48:49], v[50:51]
	v_fmac_f64_e32 v[52:53], v[60:61], v[48:49]
	v_mul_f64 v[46:47], v[46:47], v[52:53]
	v_cndmask_b32_e32 v47, 0, v47, vcc
	v_cndmask_b32_e32 v46, 0, v46, vcc
	v_add_f64 v[48:49], -v[46:47], 2.0
	v_cmp_gt_f64_e32 vcc, 0, v[36:37]
	v_cndmask_b32_e32 v37, v47, v49, vcc
	v_cndmask_b32_e32 v36, v46, v48, vcc
	v_mul_f64 v[28:29], v[36:37], v[28:29]
	v_div_scale_f64 v[36:37], s[6:7], v[26:27], v[26:27], v[28:29]
	v_rcp_f64_e32 v[46:47], v[36:37]
	s_mov_b64 s[6:7], 0
	v_fma_f64 v[48:49], -v[36:37], v[46:47], 1.0
	v_fmac_f64_e32 v[46:47], v[46:47], v[48:49]
	v_fma_f64 v[48:49], -v[36:37], v[46:47], 1.0
	v_fmac_f64_e32 v[46:47], v[46:47], v[48:49]
	v_div_scale_f64 v[48:49], vcc, v[28:29], v[26:27], v[28:29]
	v_mul_f64 v[50:51], v[48:49], v[46:47]
	v_fma_f64 v[36:37], -v[36:37], v[50:51], v[48:49]
	s_nop 1
	v_div_fmas_f64 v[36:37], v[36:37], v[46:47], v[50:51]
	v_div_fixup_f64 v[26:27], v[36:37], v[26:27], v[28:29]
	global_load_dwordx2 v[28:29], v[8:9], off offset:48
	v_add_f64 v[32:33], v[32:33], -v[26:27]
	v_mul_f64 v[34:35], v[34:35], -v[32:33]
.LBB0_52:                               ;   Parent Loop BB0_39 Depth=1
                                        ; =>  This Inner Loop Header: Depth=2
	s_waitcnt vmcnt(0)
	v_add_f64 v[26:27], v[28:29], -v[34:35]
	global_atomic_cmpswap_x2 v[26:27], v[8:9], v[26:29], off offset:48 glc
	s_waitcnt vmcnt(0)
	v_cmp_eq_u64_e32 vcc, v[26:27], v[28:29]
	s_or_b64 s[6:7], vcc, s[6:7]
	v_pk_mov_b32 v[28:29], v[26:27], v[26:27] op_sel:[0,1]
	s_andn2_b64 exec, exec, s[6:7]
	s_cbranch_execnz .LBB0_52
; %bb.53:                               ;   in Loop: Header=BB0_39 Depth=1
	s_or_b64 exec, exec, s[6:7]
	v_div_scale_f64 v[26:27], s[6:7], v[30:31], v[30:31], v[14:15]
	v_rcp_f64_e32 v[28:29], v[26:27]
	s_mov_b64 s[6:7], 0
	v_fma_f64 v[36:37], -v[26:27], v[28:29], 1.0
	v_fmac_f64_e32 v[28:29], v[28:29], v[36:37]
	v_fma_f64 v[36:37], -v[26:27], v[28:29], 1.0
	v_fmac_f64_e32 v[28:29], v[28:29], v[36:37]
	v_div_scale_f64 v[36:37], vcc, v[14:15], v[30:31], v[14:15]
	v_mul_f64 v[46:47], v[36:37], v[28:29]
	v_fma_f64 v[26:27], -v[26:27], v[46:47], v[36:37]
	s_nop 1
	v_div_fmas_f64 v[26:27], v[26:27], v[28:29], v[46:47]
	global_load_dwordx2 v[28:29], v[8:9], off offset:56
	v_div_fixup_f64 v[26:27], v[26:27], v[30:31], v[14:15]
	v_mul_f64 v[36:37], v[26:27], -v[32:33]
.LBB0_54:                               ;   Parent Loop BB0_39 Depth=1
                                        ; =>  This Inner Loop Header: Depth=2
	s_waitcnt vmcnt(0)
	v_add_f64 v[26:27], v[28:29], -v[36:37]
	global_atomic_cmpswap_x2 v[26:27], v[8:9], v[26:29], off offset:56 glc
	s_waitcnt vmcnt(0)
	v_cmp_eq_u64_e32 vcc, v[26:27], v[28:29]
	s_or_b64 s[6:7], vcc, s[6:7]
	v_pk_mov_b32 v[28:29], v[26:27], v[26:27] op_sel:[0,1]
	s_andn2_b64 exec, exec, s[6:7]
	s_cbranch_execnz .LBB0_54
; %bb.55:                               ;   in Loop: Header=BB0_39 Depth=1
	s_or_b64 exec, exec, s[6:7]
	v_div_scale_f64 v[26:27], s[6:7], v[30:31], v[30:31], v[118:119]
	v_rcp_f64_e32 v[28:29], v[26:27]
	v_add_f64 v[0:1], v[0:1], v[34:35]
	v_add_f64 v[2:3], v[2:3], v[36:37]
	s_mov_b64 s[6:7], 0
	v_fma_f64 v[34:35], -v[26:27], v[28:29], 1.0
	v_fmac_f64_e32 v[28:29], v[28:29], v[34:35]
	v_fma_f64 v[34:35], -v[26:27], v[28:29], 1.0
	v_fmac_f64_e32 v[28:29], v[28:29], v[34:35]
	v_div_scale_f64 v[34:35], vcc, v[118:119], v[30:31], v[118:119]
	v_mul_f64 v[36:37], v[34:35], v[28:29]
	v_fma_f64 v[26:27], -v[26:27], v[36:37], v[34:35]
	s_nop 1
	v_div_fmas_f64 v[26:27], v[26:27], v[28:29], v[36:37]
	global_load_dwordx2 v[28:29], v[8:9], off offset:64
	v_div_fixup_f64 v[26:27], v[26:27], v[30:31], v[118:119]
	v_mul_f64 v[30:31], v[26:27], -v[32:33]
	v_fma_f64 v[4:5], v[26:27], -v[32:33], v[4:5]
.LBB0_56:                               ;   Parent Loop BB0_39 Depth=1
                                        ; =>  This Inner Loop Header: Depth=2
	s_waitcnt vmcnt(0)
	v_add_f64 v[26:27], v[28:29], -v[30:31]
	global_atomic_cmpswap_x2 v[26:27], v[8:9], v[26:29], off offset:64 glc
	s_waitcnt vmcnt(0)
	v_cmp_eq_u64_e32 vcc, v[26:27], v[28:29]
	s_or_b64 s[6:7], vcc, s[6:7]
	v_pk_mov_b32 v[28:29], v[26:27], v[26:27] op_sel:[0,1]
	s_andn2_b64 exec, exec, s[6:7]
	s_cbranch_execnz .LBB0_56
; %bb.57:                               ;   in Loop: Header=BB0_39 Depth=1
	s_or_b64 exec, exec, s[6:7]
.LBB0_58:                               ;   in Loop: Header=BB0_39 Depth=1
	s_or_b64 exec, exec, s[10:11]
.LBB0_59:                               ;   in Loop: Header=BB0_39 Depth=1
	s_or_b64 exec, exec, s[8:9]
	v_readlane_b32 s4, v127, 10
	v_readlane_b32 s5, v127, 11
	s_andn2_b64 vcc, exec, s[4:5]
	s_cbranch_vccnz .LBB0_37
; %bb.60:                               ;   in Loop: Header=BB0_39 Depth=1
	global_load_dword v26, v[8:9], off offset:72
	s_waitcnt vmcnt(0)
	v_cmp_lt_i32_e32 vcc, v40, v26
	s_and_saveexec_b64 s[36:37], vcc
	s_cbranch_execz .LBB0_36
; %bb.61:                               ;   in Loop: Header=BB0_39 Depth=1
	global_load_dwordx2 v[26:27], v[8:9], off offset:40
	buffer_load_dword v28, off, s[96:99], 0 ; 4-byte Folded Reload
	buffer_load_dword v29, off, s[96:99], 0 offset:4 ; 4-byte Folded Reload
	v_readlane_b32 s4, v127, 16
	v_readlane_b32 s5, v127, 17
	s_mov_b32 s7, s5
	s_mov_b32 s4, s88
	v_writelane_b32 v127, s6, 16
	v_add_co_u32_e32 v33, vcc, 48, v8
	v_writelane_b32 v127, s7, 17
	v_addc_co_u32_e32 v59, vcc, 0, v9, vcc
	s_mov_b32 s24, 0
	s_waitcnt vmcnt(2)
	v_mul_f64 v[26:27], v[16:17], v[26:27]
	s_waitcnt vmcnt(0)
	v_mul_f64 v[26:27], v[28:29], v[26:27]
	v_mul_f64 v[46:47], v[26:27], s[4:5]
	s_branch .LBB0_64
.LBB0_62:                               ;   in Loop: Header=BB0_64 Depth=2
	s_or_b64 exec, exec, s[38:39]
.LBB0_63:                               ;   in Loop: Header=BB0_64 Depth=2
	s_add_i32 s24, s24, 1
	s_cmp_lg_u32 s24, 3
	s_cbranch_scc0 .LBB0_35
.LBB0_64:                               ;   Parent Loop BB0_39 Depth=1
                                        ; =>  This Loop Header: Depth=2
                                        ;       Child Loop BB0_68 Depth 3
                                        ;         Child Loop BB0_72 Depth 4
                                        ;           Child Loop BB0_75 Depth 5
                                        ;             Child Loop BB0_81 Depth 6
	v_readlane_b32 s4, v127, 12
	v_readlane_b32 s5, v127, 13
	s_andn2_b64 vcc, exec, s[4:5]
	s_cbranch_vccnz .LBB0_63
; %bb.65:                               ;   in Loop: Header=BB0_64 Depth=2
	s_lshl_b64 s[6:7], s[24:25], 3
	v_mov_b32_e32 v8, s7
	v_add_co_u32_e32 v48, vcc, s6, v33
	v_mov_b32_e32 v26, s25
	v_addc_co_u32_e32 v49, vcc, v59, v8, vcc
	s_mov_b64 s[38:39], 0
	v_mov_b32_e32 v8, 0
	s_branch .LBB0_68
.LBB0_66:                               ;   in Loop: Header=BB0_68 Depth=3
	s_or_b64 exec, exec, s[42:43]
.LBB0_67:                               ;   in Loop: Header=BB0_68 Depth=3
	s_or_b64 exec, exec, s[40:41]
	v_add_u32_e32 v8, 1, v26
	v_cmp_le_i32_e32 vcc, s58, v26
	v_mov_b32_e32 v28, v10
	s_or_b64 s[38:39], vcc, s[38:39]
	v_mov_b32_e32 v27, v9
	v_mov_b32_e32 v26, v8
	s_andn2_b64 exec, exec, s[38:39]
	s_cbranch_execz .LBB0_62
.LBB0_68:                               ;   Parent Loop BB0_39 Depth=1
                                        ;     Parent Loop BB0_64 Depth=2
                                        ; =>    This Loop Header: Depth=3
                                        ;         Child Loop BB0_72 Depth 4
                                        ;           Child Loop BB0_75 Depth 5
                                        ;             Child Loop BB0_81 Depth 6
	v_mov_b32_e32 v9, s59
	v_cmp_ne_u32_e32 vcc, 0, v8
	v_mov_b32_e32 v36, v28
	v_cndmask_b32_e32 v8, 0, v9, vcc
	v_mov_b32_e32 v35, v27
	v_mov_b32_e32 v34, v26
	v_mov_b32_e32 v35, v8
	v_cmp_ge_i32_e32 vcc, s58, v8
	s_and_saveexec_b64 s[40:41], vcc
	s_cbranch_execz .LBB0_67
; %bb.69:                               ;   in Loop: Header=BB0_68 Depth=3
	s_mov_b64 s[42:43], 0
	s_branch .LBB0_72
.LBB0_70:                               ;   in Loop: Header=BB0_72 Depth=4
	s_or_b64 exec, exec, s[46:47]
	v_mov_b32_e32 v36, v32
	v_mov_b32_e32 v35, v31
	;; [unrolled: 1-line block ×3, first 2 shown]
.LBB0_71:                               ;   in Loop: Header=BB0_72 Depth=4
	s_or_b64 exec, exec, s[44:45]
	v_add_u32_e32 v8, 1, v35
	v_mov_b32_e32 v27, v8
	v_cmp_le_i32_e32 vcc, s58, v35
	v_mov_b32_e32 v36, v28
	s_or_b64 s[42:43], vcc, s[42:43]
	v_mov_b32_e32 v35, v27
	v_mov_b32_e32 v34, v26
	s_andn2_b64 exec, exec, s[42:43]
	s_cbranch_execz .LBB0_66
.LBB0_72:                               ;   Parent Loop BB0_39 Depth=1
                                        ;     Parent Loop BB0_64 Depth=2
                                        ;       Parent Loop BB0_68 Depth=3
                                        ; =>      This Loop Header: Depth=4
                                        ;           Child Loop BB0_75 Depth 5
                                        ;             Child Loop BB0_81 Depth 6
	v_or_b32_e32 v8, v8, v26
	v_mov_b32_e32 v9, s59
	v_cmp_ne_u32_e32 vcc, 0, v8
	v_mov_b32_e32 v26, v34
	v_cndmask_b32_e32 v60, 1, v9, vcc
	v_mov_b32_e32 v28, v36
	v_mov_b32_e32 v27, v35
	;; [unrolled: 1-line block ×3, first 2 shown]
	v_cmp_ge_i32_e32 vcc, s58, v60
	s_and_saveexec_b64 s[44:45], vcc
	s_cbranch_execz .LBB0_71
; %bb.73:                               ;   in Loop: Header=BB0_72 Depth=4
	s_mov_b64 s[46:47], 0
	s_branch .LBB0_75
.LBB0_74:                               ;   in Loop: Header=BB0_75 Depth=5
	s_or_b64 exec, exec, s[48:49]
	v_mov_b32_e32 v26, v30
	v_add_u32_e32 v8, 1, v60
	v_mov_b32_e32 v28, v32
	v_cmp_le_i32_e32 vcc, s58, v60
	v_mov_b32_e32 v36, v32
	v_mov_b32_e32 v27, v31
	;; [unrolled: 1-line block ×3, first 2 shown]
	s_or_b64 s[46:47], vcc, s[46:47]
	v_mov_b32_e32 v60, v8
	v_mov_b32_e32 v35, v31
	;; [unrolled: 1-line block ×3, first 2 shown]
	s_andn2_b64 exec, exec, s[46:47]
	s_cbranch_execz .LBB0_70
.LBB0_75:                               ;   Parent Loop BB0_39 Depth=1
                                        ;     Parent Loop BB0_64 Depth=2
                                        ;       Parent Loop BB0_68 Depth=3
                                        ;         Parent Loop BB0_72 Depth=4
                                        ; =>        This Loop Header: Depth=5
                                        ;             Child Loop BB0_81 Depth 6
	v_mov_b32_e32 v32, v28
	v_mov_b32_e32 v31, v27
	;; [unrolled: 1-line block ×3, first 2 shown]
	v_mul_lo_u32 v8, v34, v34
	v_mul_lo_u32 v9, v35, v35
	;; [unrolled: 1-line block ×3, first 2 shown]
	v_add3_u32 v8, v8, v9, v26
	v_cmp_ge_u32_e32 vcc, s33, v8
	s_and_saveexec_b64 s[48:49], vcc
	s_cbranch_execz .LBB0_74
; %bb.76:                               ;   in Loop: Header=BB0_75 Depth=5
	s_load_dwordx16 s[8:23], s[30:31], 0x0
	v_pk_mov_b32 v[8:9], s[88:89], s[88:89] op_sel:[0,1]
	v_cvt_f64_i32_e32 v[34:35], v30
	v_cvt_f64_i32_e32 v[36:37], v31
	;; [unrolled: 1-line block ×3, first 2 shown]
	s_waitcnt lgkmcnt(0)
	v_mul_f64 v[26:27], s[8:9], v[8:9]
	v_fma_f64 v[26:27], v[26:27], v[34:35], 0
	v_mul_f64 v[28:29], s[14:15], v[8:9]
	v_fmac_f64_e32 v[26:27], v[28:29], v[36:37]
	v_mul_f64 v[28:29], s[20:21], v[8:9]
	v_fmac_f64_e32 v[26:27], v[28:29], v[50:51]
	v_mul_f64 v[28:29], s[10:11], v[8:9]
	s_load_dwordx2 s[6:7], s[30:31], 0x40
	v_fma_f64 v[28:29], v[28:29], v[34:35], 0
	v_mul_f64 v[52:53], s[16:17], v[8:9]
	v_fmac_f64_e32 v[28:29], v[52:53], v[36:37]
	v_mul_f64 v[52:53], s[22:23], v[8:9]
	v_fmac_f64_e32 v[28:29], v[52:53], v[50:51]
	v_mul_f64 v[52:53], s[12:13], v[8:9]
	v_fma_f64 v[34:35], v[52:53], v[34:35], 0
	v_mul_f64 v[52:53], s[18:19], v[8:9]
	v_fmac_f64_e32 v[34:35], v[52:53], v[36:37]
	s_waitcnt lgkmcnt(0)
	v_mul_f64 v[8:9], s[6:7], v[8:9]
	v_fmac_f64_e32 v[34:35], v[8:9], v[50:51]
	v_mul_f64 v[8:9], v[28:29], v[14:15]
	v_fmac_f64_e32 v[8:9], v[26:27], v[44:45]
	v_fmac_f64_e32 v[8:9], v[34:35], v[118:119]
	v_cmp_nlt_f64_e64 s[6:7], |v[8:9]|, s[82:83]
                                        ; implicit-def: $vgpr61
                                        ; implicit-def: $vgpr36_vgpr37
                                        ; implicit-def: $vgpr50_vgpr51
	s_and_saveexec_b64 s[8:9], s[6:7]
	s_xor_b64 s[8:9], exec, s[8:9]
	s_cbranch_execz .LBB0_78
; %bb.77:                               ;   in Loop: Header=BB0_75 Depth=5
	v_and_b32_e32 v61, 0x7fffffff, v9
	v_ldexp_f64 v[52:53], |v[8:9]|, s0
	v_cmp_ge_f64_e64 vcc, |v[8:9]|, s[84:85]
	v_trig_preop_f64 v[36:37], |v[8:9]|, 0
	v_cndmask_b32_e32 v53, v61, v53, vcc
	v_cndmask_b32_e32 v52, v8, v52, vcc
	v_trig_preop_f64 v[50:51], |v[8:9]|, 1
	v_mul_f64 v[64:65], v[36:37], v[52:53]
	v_mul_f64 v[62:63], v[50:51], v[52:53]
	v_fma_f64 v[36:37], v[36:37], v[52:53], -v[64:65]
	v_add_f64 v[66:67], v[62:63], v[36:37]
	v_add_f64 v[68:69], v[64:65], v[66:67]
	v_ldexp_f64 v[70:71], v[68:69], -2
	v_fract_f64_e32 v[72:73], v[70:71]
	v_cmp_neq_f64_e64 vcc, |v[70:71]|, s[86:87]
	v_cndmask_b32_e32 v71, 0, v73, vcc
	v_cndmask_b32_e32 v70, 0, v72, vcc
	v_add_f64 v[72:73], v[66:67], -v[62:63]
	v_add_f64 v[36:37], v[36:37], -v[72:73]
	;; [unrolled: 1-line block ×4, first 2 shown]
	v_fma_f64 v[50:51], v[50:51], v[52:53], -v[62:63]
	v_trig_preop_f64 v[62:63], |v[8:9]|, 2
	v_add_f64 v[36:37], v[36:37], v[72:73]
	v_mul_f64 v[72:73], v[62:63], v[52:53]
	v_add_f64 v[74:75], v[72:73], v[50:51]
	v_add_f64 v[76:77], v[74:75], v[36:37]
	v_add_f64 v[64:65], v[68:69], -v[64:65]
	v_add_f64 v[68:69], v[76:77], -v[74:75]
	;; [unrolled: 1-line block ×5, first 2 shown]
	v_add_f64 v[36:37], v[36:37], v[68:69]
	v_add_f64 v[68:69], v[74:75], -v[72:73]
	v_add_f64 v[50:51], v[50:51], -v[68:69]
	;; [unrolled: 1-line block ×4, first 2 shown]
	v_add_f64 v[50:51], v[50:51], v[68:69]
	v_add_f64 v[64:65], v[66:67], -v[64:65]
	v_add_f64 v[36:37], v[50:51], v[36:37]
	v_fma_f64 v[50:51], v[62:63], v[52:53], -v[72:73]
	v_add_f64 v[66:67], v[64:65], v[76:77]
	v_add_f64 v[36:37], v[50:51], v[36:37]
	v_ldexp_f64 v[50:51], v[70:71], 2
	v_add_f64 v[52:53], v[66:67], v[50:51]
	v_cmp_gt_f64_e32 vcc, 0, v[52:53]
	v_cndmask_b32_e32 v121, 0, v56, vcc
	v_add_f64 v[50:51], v[50:51], v[120:121]
	v_add_f64 v[52:53], v[66:67], v[50:51]
	v_cvt_i32_f64_e32 v61, v[52:53]
	v_cvt_f64_i32_e32 v[52:53], v61
	v_add_f64 v[50:51], v[50:51], -v[52:53]
	v_add_f64 v[64:65], v[66:67], -v[64:65]
	v_add_f64 v[52:53], v[66:67], v[50:51]
	v_add_f64 v[64:65], v[76:77], -v[64:65]
	v_add_f64 v[50:51], v[52:53], -v[50:51]
	v_cmp_le_f64_e32 vcc, 0.5, v[52:53]
	v_add_f64 v[36:37], v[64:65], v[36:37]
	v_add_f64 v[50:51], v[66:67], -v[50:51]
	v_cndmask_b32_e32 v121, 0, v57, vcc
	v_add_f64 v[36:37], v[36:37], v[50:51]
	v_add_f64 v[50:51], v[52:53], -v[120:121]
	v_add_f64 v[52:53], v[50:51], v[36:37]
	v_add_f64 v[50:51], v[52:53], -v[50:51]
	s_mov_b32 s78, s88
	v_add_f64 v[36:37], v[36:37], -v[50:51]
	v_mul_f64 v[50:51], v[52:53], s[78:79]
	v_fma_f64 v[62:63], v[52:53], s[78:79], -v[50:51]
	s_mov_b32 s93, s91
	v_fmac_f64_e32 v[62:63], s[92:93], v[52:53]
	v_fmac_f64_e32 v[62:63], s[78:79], v[36:37]
	v_add_f64 v[36:37], v[50:51], v[62:63]
	v_add_f64 v[50:51], v[36:37], -v[50:51]
	v_addc_co_u32_e64 v61, s[6:7], 0, v61, vcc
	v_add_f64 v[50:51], v[62:63], -v[50:51]
.LBB0_78:                               ;   in Loop: Header=BB0_75 Depth=5
	s_andn2_saveexec_b64 s[6:7], s[8:9]
	s_cbranch_execz .LBB0_80
; %bb.79:                               ;   in Loop: Header=BB0_75 Depth=5
	v_mul_f64 v[36:37], |v[8:9]|, s[66:67]
	v_rndne_f64_e32 v[52:53], v[36:37]
	s_mov_b32 s80, s88
	v_fma_f64 v[36:37], v[52:53], s[80:81], |v[8:9]|
	v_mul_f64 v[62:63], v[52:53], s[60:61]
	v_add_f64 v[66:67], v[36:37], v[62:63]
	v_fma_f64 v[50:51], s[60:61], v[52:53], v[36:37]
	s_mov_b32 s90, s60
	v_add_f64 v[36:37], v[36:37], -v[66:67]
	v_fma_f64 v[64:65], s[90:91], v[52:53], v[62:63]
	v_add_f64 v[36:37], v[36:37], v[62:63]
	v_add_f64 v[62:63], v[66:67], -v[50:51]
	v_add_f64 v[36:37], v[62:63], v[36:37]
	v_add_f64 v[62:63], v[36:37], -v[64:65]
	v_fmac_f64_e32 v[62:63], s[26:27], v[52:53]
	v_add_f64 v[36:37], v[50:51], v[62:63]
	v_add_f64 v[50:51], v[36:37], -v[50:51]
	v_add_f64 v[50:51], v[62:63], -v[50:51]
	v_cvt_i32_f64_e32 v61, v[52:53]
.LBB0_80:                               ;   in Loop: Header=BB0_75 Depth=5
	s_or_b64 exec, exec, s[6:7]
	v_mul_f64 v[52:53], v[28:29], v[28:29]
	v_fmac_f64_e32 v[52:53], v[26:27], v[26:27]
	s_cmp_eq_u32 s24, 1
	v_fmac_f64_e32 v[52:53], v[34:35], v[34:35]
	s_cselect_b64 s[6:7], -1, 0
	s_cmp_eq_u32 s24, 2
	v_cndmask_b32_e64 v27, v27, v29, s[6:7]
	s_cselect_b64 s[8:9], -1, 0
	v_cndmask_b32_e64 v26, v26, v28, s[6:7]
	v_div_scale_f64 v[28:29], s[10:11], v[42:43], v[42:43], -v[52:53]
	v_cndmask_b32_e64 v27, v27, v35, s[8:9]
	v_cndmask_b32_e64 v26, v26, v34, s[8:9]
	v_rcp_f64_e32 v[34:35], v[28:29]
	v_pk_mov_b32 v[66:67], v[88:89], v[88:89] op_sel:[0,1]
	v_mul_f64 v[26:27], v[46:47], v[26:27]
	v_pk_mov_b32 v[68:69], v[106:107], v[106:107] op_sel:[0,1]
	v_fma_f64 v[62:63], -v[28:29], v[34:35], 1.0
	v_fmac_f64_e32 v[34:35], v[34:35], v[62:63]
	v_fma_f64 v[62:63], -v[28:29], v[34:35], 1.0
	v_fmac_f64_e32 v[34:35], v[34:35], v[62:63]
	v_div_scale_f64 v[62:63], vcc, -v[52:53], v[42:43], -v[52:53]
	v_mul_f64 v[64:65], v[62:63], v[34:35]
	v_fma_f64 v[28:29], -v[28:29], v[64:65], v[62:63]
	v_mov_b32_e32 v123, v99
	s_nop 0
	v_div_fmas_f64 v[28:29], v[28:29], v[34:35], v[64:65]
	v_div_fixup_f64 v[28:29], v[28:29], v[42:43], -v[52:53]
	v_mul_f64 v[34:35], v[28:29], s[68:69]
	v_rndne_f64_e32 v[34:35], v[34:35]
	v_fma_f64 v[62:63], s[70:71], v[34:35], v[28:29]
	v_fmac_f64_e32 v[62:63], s[72:73], v[34:35]
	v_pk_mov_b32 v[64:65], v[86:87], v[86:87] op_sel:[0,1]
	v_fmac_f64_e32 v[64:65], s[76:77], v[62:63]
	v_fmac_f64_e32 v[66:67], v[62:63], v[64:65]
	v_pk_mov_b32 v[64:65], v[90:91], v[90:91] op_sel:[0,1]
	v_fmac_f64_e32 v[64:65], v[62:63], v[66:67]
	v_pk_mov_b32 v[66:67], v[92:93], v[92:93] op_sel:[0,1]
	;; [unrolled: 2-line block ×7, first 2 shown]
	v_fmac_f64_e32 v[64:65], v[62:63], v[66:67]
	v_fma_f64 v[64:65], v[62:63], v[64:65], 1.0
	v_fma_f64 v[62:63], v[62:63], v[64:65], 1.0
	v_cvt_i32_f64_e32 v34, v[34:35]
	v_ldexp_f64 v[34:35], v[62:63], v34
	v_cmp_nlt_f64_e32 vcc, s[94:95], v[28:29]
	v_cmp_ngt_f64_e64 s[10:11], s[74:75], v[28:29]
	v_cndmask_b32_e32 v35, v55, v35, vcc
	s_and_b64 vcc, s[10:11], vcc
	v_cndmask_b32_e32 v28, 0, v34, vcc
	v_cndmask_b32_e64 v29, 0, v35, s[10:11]
	v_mul_f64 v[26:27], v[26:27], v[28:29]
	v_mul_f64 v[28:29], v[36:37], v[36:37]
	v_pk_mov_b32 v[66:67], v[104:105], v[104:105] op_sel:[0,1]
	v_mul_f64 v[34:35], v[28:29], 0.5
	v_fmac_f64_e32 v[66:67], s[28:29], v[28:29]
	v_add_f64 v[62:63], -v[34:35], 1.0
	v_fmac_f64_e32 v[68:69], v[28:29], v[66:67]
	v_pk_mov_b32 v[66:67], v[108:109], v[108:109] op_sel:[0,1]
	v_add_f64 v[64:65], -v[62:63], 1.0
	v_fmac_f64_e32 v[66:67], v[28:29], v[68:69]
	v_pk_mov_b32 v[68:69], v[110:111], v[110:111] op_sel:[0,1]
	v_add_f64 v[34:35], v[64:65], -v[34:35]
	v_fmac_f64_e32 v[68:69], v[28:29], v[66:67]
	v_pk_mov_b32 v[66:67], v[122:123], v[122:123] op_sel:[0,1]
	v_mul_f64 v[64:65], v[28:29], v[28:29]
	v_fmac_f64_e32 v[66:67], v[28:29], v[68:69]
	v_fma_f64 v[34:35], v[36:37], -v[50:51], v[34:35]
	v_fmac_f64_e32 v[34:35], v[64:65], v[66:67]
	v_add_f64 v[34:35], v[62:63], v[34:35]
	v_pk_mov_b32 v[62:63], v[112:113], v[112:113] op_sel:[0,1]
	v_fmac_f64_e32 v[62:63], s[64:65], v[28:29]
	v_pk_mov_b32 v[64:65], v[114:115], v[114:115] op_sel:[0,1]
	v_fmac_f64_e32 v[64:65], v[28:29], v[62:63]
	v_pk_mov_b32 v[62:63], v[116:117], v[116:117] op_sel:[0,1]
	v_mov_b32_e32 v125, v97
	v_fmac_f64_e32 v[62:63], v[28:29], v[64:65]
	v_pk_mov_b32 v[64:65], v[124:125], v[124:125] op_sel:[0,1]
	v_fmac_f64_e32 v[64:65], v[28:29], v[62:63]
	v_mul_f64 v[62:63], v[36:37], -v[28:29]
	v_mul_f64 v[66:67], v[50:51], 0.5
	v_fmac_f64_e32 v[66:67], v[62:63], v[64:65]
	v_fma_f64 v[28:29], v[28:29], v[66:67], -v[50:51]
	v_fmac_f64_e32 v[28:29], s[2:3], v[62:63]
	v_add_f64 v[28:29], v[36:37], -v[28:29]
	v_and_b32_e32 v36, 1, v61
	v_cmp_eq_u32_e32 vcc, 0, v36
	v_cndmask_b32_e32 v28, v34, v28, vcc
	v_lshlrev_b32_e32 v34, 30, v61
	v_xor_b32_e32 v34, v34, v9
	v_cndmask_b32_e32 v29, v35, v29, vcc
	v_and_b32_e32 v34, 0x80000000, v34
	v_xor_b32_e32 v29, v29, v34
	v_cmp_class_f64_e64 vcc, v[8:9], s1
	v_cndmask_b32_e32 v8, 0, v28, vcc
	v_cndmask_b32_e32 v9, v58, v29, vcc
	v_mul_f64 v[8:9], v[26:27], v[8:9]
	v_div_scale_f64 v[26:27], s[10:11], v[52:53], v[52:53], v[8:9]
	v_rcp_f64_e32 v[28:29], v[26:27]
	s_cmp_eq_u32 s24, 0
	v_fma_f64 v[34:35], -v[26:27], v[28:29], 1.0
	v_fmac_f64_e32 v[28:29], v[28:29], v[34:35]
	v_fma_f64 v[34:35], -v[26:27], v[28:29], 1.0
	v_fmac_f64_e32 v[28:29], v[28:29], v[34:35]
	v_div_scale_f64 v[34:35], vcc, v[8:9], v[52:53], v[8:9]
	v_mul_f64 v[36:37], v[34:35], v[28:29]
	v_fma_f64 v[26:27], -v[26:27], v[36:37], v[34:35]
	s_nop 1
	v_div_fmas_f64 v[26:27], v[26:27], v[28:29], v[36:37]
	v_cndmask_b32_e64 v28, v1, v3, s[6:7]
	v_cndmask_b32_e64 v29, v28, v5, s[8:9]
	;; [unrolled: 1-line block ×3, first 2 shown]
	v_div_fixup_f64 v[26:27], v[26:27], v[52:53], v[8:9]
	v_cndmask_b32_e64 v28, v28, v4, s[8:9]
	v_fmac_f64_e32 v[28:29], 2.0, v[26:27]
	s_cselect_b64 vcc, -1, 0
	v_cndmask_b32_e64 v5, v5, v29, s[8:9]
	v_cndmask_b32_e64 v4, v4, v28, s[8:9]
	;; [unrolled: 1-line block ×4, first 2 shown]
	v_cndmask_b32_e32 v1, v1, v29, vcc
	v_cndmask_b32_e32 v0, v0, v28, vcc
	global_load_dwordx2 v[28:29], v[48:49], off
	v_add_f64 v[8:9], v[26:27], v[26:27]
	s_mov_b64 s[6:7], 0
.LBB0_81:                               ;   Parent Loop BB0_39 Depth=1
                                        ;     Parent Loop BB0_64 Depth=2
                                        ;       Parent Loop BB0_68 Depth=3
                                        ;         Parent Loop BB0_72 Depth=4
                                        ;           Parent Loop BB0_75 Depth=5
                                        ; =>          This Inner Loop Header: Depth=6
	s_waitcnt vmcnt(0)
	v_add_f64 v[26:27], v[28:29], -v[8:9]
	global_atomic_cmpswap_x2 v[26:27], v[48:49], v[26:29], off glc
	s_waitcnt vmcnt(0)
	v_cmp_eq_u64_e32 vcc, v[26:27], v[28:29]
	s_or_b64 s[6:7], vcc, s[6:7]
	v_pk_mov_b32 v[28:29], v[26:27], v[26:27] op_sel:[0,1]
	s_andn2_b64 exec, exec, s[6:7]
	s_cbranch_execnz .LBB0_81
; %bb.82:                               ;   in Loop: Header=BB0_75 Depth=5
	s_or_b64 exec, exec, s[6:7]
	s_branch .LBB0_74
.LBB0_83:
	global_load_dwordx2 v[28:29], v[38:39], off offset:48
	s_mov_b64 s[0:1], 0
	v_readlane_b32 s2, v127, 9
.LBB0_84:                               ; =>This Inner Loop Header: Depth=1
	s_waitcnt vmcnt(0)
	v_add_f64 v[26:27], v[28:29], v[0:1]
	global_atomic_cmpswap_x2 v[8:9], v[38:39], v[26:29], off offset:48 glc
	s_waitcnt vmcnt(0)
	v_cmp_eq_u64_e32 vcc, v[8:9], v[28:29]
	s_or_b64 s[0:1], vcc, s[0:1]
	v_pk_mov_b32 v[28:29], v[8:9], v[8:9] op_sel:[0,1]
	s_andn2_b64 exec, exec, s[0:1]
	s_cbranch_execnz .LBB0_84
; %bb.85:
	s_or_b64 exec, exec, s[0:1]
	global_load_dwordx2 v[28:29], v[38:39], off offset:56
	s_mov_b64 s[0:1], 0
.LBB0_86:                               ; =>This Inner Loop Header: Depth=1
	s_waitcnt vmcnt(0)
	v_add_f64 v[26:27], v[28:29], v[2:3]
	global_atomic_cmpswap_x2 v[0:1], v[38:39], v[26:29], off offset:56 glc
	s_waitcnt vmcnt(0)
	v_cmp_eq_u64_e32 vcc, v[0:1], v[28:29]
	s_or_b64 s[0:1], vcc, s[0:1]
	v_pk_mov_b32 v[28:29], v[0:1], v[0:1] op_sel:[0,1]
	s_andn2_b64 exec, exec, s[0:1]
	s_cbranch_execnz .LBB0_86
; %bb.87:
	s_or_b64 exec, exec, s[0:1]
	global_load_dwordx2 v[2:3], v[38:39], off offset:64
	s_mov_b64 s[0:1], 0
.LBB0_88:                               ; =>This Inner Loop Header: Depth=1
	s_waitcnt vmcnt(0)
	v_add_f64 v[0:1], v[2:3], v[4:5]
	global_atomic_cmpswap_x2 v[0:1], v[38:39], v[0:3], off offset:64 glc
	s_waitcnt vmcnt(0)
	v_cmp_eq_u64_e32 vcc, v[0:1], v[2:3]
	s_or_b64 s[0:1], vcc, s[0:1]
	v_pk_mov_b32 v[2:3], v[0:1], v[0:1] op_sel:[0,1]
	s_andn2_b64 exec, exec, s[0:1]
	s_cbranch_execnz .LBB0_88
; %bb.89:
	s_or_b64 exec, exec, s[0:1]
	s_cmp_lg_u32 s2, 2
	s_cbranch_scc1 .LBB0_119
.LBB0_90:
	s_waitcnt vmcnt(2)
	v_add_u32_e32 v41, 1, v126
	v_cmp_gt_i32_e32 vcc, s50, v41
	s_and_b64 exec, exec, vcc
	s_cbranch_execz .LBB0_119
; %bb.91:
	v_readlane_b32 s4, v127, 0
	v_readlane_b32 s5, v127, 1
	s_load_dwordx4 s[0:3], s[4:5], 0x10
	s_load_dwordx2 s[20:21], s[4:5], 0x40
	v_readlane_b32 s4, v127, 6
	v_readlane_b32 s5, v127, 7
	s_mov_b32 s24, 0
	s_waitcnt lgkmcnt(0)
	v_mul_f64 v[0:1], s[0:1], s[0:1]
	v_div_scale_f64 v[2:3], s[0:1], v[0:1], v[0:1], 1.0
	v_rcp_f64_e32 v[4:5], v[2:3]
	v_div_scale_f64 v[8:9], vcc, 1.0, v[0:1], 1.0
	s_mov_b32 s26, 0
	v_fma_f64 v[14:15], -v[2:3], v[4:5], 1.0
	v_fmac_f64_e32 v[4:5], v[4:5], v[14:15]
	v_fma_f64 v[14:15], -v[2:3], v[4:5], 1.0
	v_fmac_f64_e32 v[4:5], v[4:5], v[14:15]
	v_mul_f64 v[14:15], v[8:9], v[4:5]
	v_fma_f64 v[2:3], -v[2:3], v[14:15], v[8:9]
	v_div_fmas_f64 v[2:3], v[2:3], v[4:5], v[14:15]
	v_div_fixup_f64 v[4:5], v[2:3], v[0:1], 1.0
	v_mul_f64 v[0:1], s[20:21], 0.5
	v_mul_f64 v[14:15], s[20:21], s[20:21]
	s_mov_b32 s28, 0x652b82fe
	s_mov_b32 s34, 0xfefa39ef
	;; [unrolled: 1-line block ×9, first 2 shown]
	s_mov_b64 s[22:23], 0
	s_waitcnt vmcnt(1)
	v_cmp_neq_f64_e64 s[0:1], 0, v[20:21]
	v_cmp_neq_f64_e64 s[2:3], 0, v[16:17]
	v_mul_f64 v[8:9], v[0:1], s[20:21]
	v_mul_f64 v[20:21], v[14:15], s[20:21]
	s_movk_i32 s33, 0x70
	v_pk_mov_b32 v[26:27], s[4:5], s[4:5] op_sel:[0,1]
	s_brev_b32 s25, 8
	v_mov_b32_e32 v82, 0x260
	s_mov_b32 s27, 0xc0080000
	s_mov_b32 s29, 0x3ff71547
	;; [unrolled: 1-line block ×10, first 2 shown]
	v_mov_b32_e32 v83, 0xffffff80
	v_mov_b32_e32 v28, 0xfca7ab0c
	;; [unrolled: 1-line block ×20, first 2 shown]
	s_branch .LBB0_93
.LBB0_92:                               ;   in Loop: Header=BB0_93 Depth=1
	s_or_b64 exec, exec, s[66:67]
	v_add_u32_e32 v41, 1, v41
	v_cmp_le_i32_e32 vcc, s50, v41
	s_or_b64 s[22:23], vcc, s[22:23]
	s_andn2_b64 exec, exec, s[22:23]
	s_cbranch_execz .LBB0_119
.LBB0_93:                               ; =>This Loop Header: Depth=1
                                        ;     Child Loop BB0_108 Depth 2
                                        ;     Child Loop BB0_110 Depth 2
	;; [unrolled: 1-line block ×6, first 2 shown]
	v_mad_i64_i32 v[50:51], s[4:5], v41, s33, v[26:27]
	global_load_dword v0, v[50:51], off offset:72
	s_waitcnt vmcnt(0)
	v_cmp_ne_u32_e32 vcc, v40, v0
	s_and_saveexec_b64 s[66:67], vcc
	s_cbranch_execz .LBB0_92
; %bb.94:                               ;   in Loop: Header=BB0_93 Depth=1
	global_load_dwordx4 v[0:3], v[50:51], off
	global_load_dwordx2 v[52:53], v[50:51], off offset:16
	s_load_dwordx16 s[4:19], s[30:31], 0x0
	s_load_dwordx2 s[68:69], s[30:31], 0x40
	v_readlane_b32 s72, v127, 2
	v_readlane_b32 s74, v127, 4
	;; [unrolled: 1-line block ×3, first 2 shown]
	s_load_dwordx16 s[36:51], s[74:75], 0x0
	s_load_dwordx2 s[70:71], s[74:75], 0x40
	v_readlane_b32 s73, v127, 3
	s_waitcnt vmcnt(1)
	v_add_f64 v[0:1], v[10:11], -v[0:1]
	v_add_f64 v[2:3], v[12:13], -v[2:3]
	s_waitcnt vmcnt(0)
	v_add_f64 v[54:55], v[6:7], -v[52:53]
	s_waitcnt lgkmcnt(0)
	v_fma_f64 v[52:53], s[4:5], v[0:1], 0
	v_fma_f64 v[56:57], s[10:11], v[0:1], 0
	v_fmac_f64_e32 v[52:53], s[6:7], v[2:3]
	v_fma_f64 v[58:59], s[16:17], v[0:1], 0
	v_fmac_f64_e32 v[56:57], s[12:13], v[2:3]
	v_fmac_f64_e32 v[52:53], s[8:9], v[54:55]
	;; [unrolled: 1-line block ×4, first 2 shown]
	v_rndne_f64_e32 v[52:53], v[52:53]
	v_fmac_f64_e32 v[58:59], s[68:69], v[54:55]
	v_rndne_f64_e32 v[56:57], v[56:57]
	v_fma_f64 v[62:63], v[52:53], s[42:43], 0
	v_rndne_f64_e32 v[58:59], v[58:59]
	v_fma_f64 v[60:61], v[52:53], s[36:37], 0
	v_fmac_f64_e32 v[62:63], s[44:45], v[56:57]
	v_fma_f64 v[52:53], v[52:53], s[48:49], 0
	v_fmac_f64_e32 v[60:61], s[38:39], v[56:57]
	v_fmac_f64_e32 v[62:63], s[46:47], v[58:59]
	;; [unrolled: 1-line block ×4, first 2 shown]
	v_add_f64 v[56:57], v[2:3], -v[62:63]
	v_fmac_f64_e32 v[52:53], s[70:71], v[58:59]
	v_add_f64 v[58:59], v[0:1], -v[60:61]
	v_mul_f64 v[60:61], v[56:57], v[56:57]
	v_add_f64 v[52:53], v[54:55], -v[52:53]
	v_fmac_f64_e32 v[60:61], v[58:59], v[58:59]
	v_fmac_f64_e32 v[60:61], v[52:53], v[52:53]
	v_cmp_gt_f64_e32 vcc, s[24:25], v[60:61]
	v_cndmask_b32_e64 v62, 0, 1, vcc
	v_lshlrev_b32_e32 v62, 8, v62
	v_ldexp_f64 v[60:61], v[60:61], v62
	v_rsq_f64_e32 v[62:63], v[60:61]
	v_cndmask_b32_e32 v68, 0, v83, vcc
	v_cmp_class_f64_e32 vcc, v[60:61], v82
	v_mul_f64 v[64:65], v[60:61], v[62:63]
	v_mul_f64 v[62:63], v[62:63], 0.5
	v_fma_f64 v[66:67], -v[62:63], v[64:65], 0.5
	v_fmac_f64_e32 v[64:65], v[64:65], v[66:67]
	v_fmac_f64_e32 v[62:63], v[62:63], v[66:67]
	v_fma_f64 v[66:67], -v[64:65], v[64:65], v[60:61]
	v_fmac_f64_e32 v[64:65], v[66:67], v[62:63]
	v_fma_f64 v[66:67], -v[64:65], v[64:65], v[60:61]
	v_fmac_f64_e32 v[64:65], v[66:67], v[62:63]
	v_ldexp_f64 v[62:63], v[64:65], v68
	v_cndmask_b32_e32 v65, v63, v61, vcc
	v_cndmask_b32_e32 v64, v62, v60, vcc
	v_cmp_u_f64_e32 vcc, v[64:65], v[64:65]
	s_and_saveexec_b64 s[4:5], vcc
	s_cbranch_execz .LBB0_96
; %bb.95:                               ;   in Loop: Header=BB0_93 Depth=1
	v_mul_f64 v[52:53], v[2:3], v[2:3]
	v_fmac_f64_e32 v[52:53], v[0:1], v[0:1]
	v_fmac_f64_e32 v[52:53], v[54:55], v[54:55]
	v_cmp_gt_f64_e32 vcc, s[24:25], v[52:53]
	v_cndmask_b32_e64 v56, 0, 1, vcc
	v_lshlrev_b32_e32 v56, 8, v56
	v_ldexp_f64 v[52:53], v[52:53], v56
	v_rsq_f64_e32 v[56:57], v[52:53]
	v_mul_f64 v[58:59], v[52:53], v[56:57]
	v_mul_f64 v[56:57], v[56:57], 0.5
	v_fma_f64 v[60:61], -v[56:57], v[58:59], 0.5
	v_fmac_f64_e32 v[58:59], v[58:59], v[60:61]
	v_fmac_f64_e32 v[56:57], v[56:57], v[60:61]
	v_fma_f64 v[60:61], -v[58:59], v[58:59], v[52:53]
	v_fmac_f64_e32 v[58:59], v[60:61], v[56:57]
	v_fma_f64 v[60:61], -v[58:59], v[58:59], v[52:53]
	v_fmac_f64_e32 v[58:59], v[60:61], v[56:57]
	v_cndmask_b32_e32 v56, 0, v83, vcc
	v_ldexp_f64 v[56:57], v[58:59], v56
	v_cmp_class_f64_e32 vcc, v[52:53], v82
	v_cndmask_b32_e32 v65, v57, v53, vcc
	v_cndmask_b32_e32 v64, v56, v52, vcc
	v_pk_mov_b32 v[52:53], v[54:55], v[54:55] op_sel:[0,1]
	v_pk_mov_b32 v[56:57], v[2:3], v[2:3] op_sel:[0,1]
	v_pk_mov_b32 v[58:59], v[0:1], v[0:1] op_sel:[0,1]
.LBB0_96:                               ;   in Loop: Header=BB0_93 Depth=1
	s_or_b64 exec, exec, s[4:5]
	v_readlane_b32 s4, v127, 2
	v_readlane_b32 s5, v127, 3
	v_cmp_nlt_f64_e32 vcc, s[4:5], v[64:65]
	s_and_b64 s[4:5], exec, vcc
	v_readlane_b32 s50, v127, 8
	v_readlane_b32 s6, v127, 4
	;; [unrolled: 1-line block ×3, first 2 shown]
	s_mov_b64 exec, s[4:5]
	s_cbranch_execz .LBB0_92
; %bb.97:                               ;   in Loop: Header=BB0_93 Depth=1
	global_load_dwordx2 v[80:81], v[50:51], off offset:40
	global_load_dwordx4 v[0:3], v[50:51], off offset:80
	global_load_dwordx2 v[66:67], v[50:51], off offset:96
	v_div_scale_f64 v[54:55], s[4:5], v[64:65], v[64:65], 1.0
	v_rcp_f64_e32 v[70:71], v[54:55]
	v_div_scale_f64 v[68:69], vcc, 1.0, v[64:65], 1.0
	v_pk_mov_b32 v[62:63], 0, 0
	v_fma_f64 v[72:73], -v[54:55], v[70:71], 1.0
	v_fmac_f64_e32 v[70:71], v[70:71], v[72:73]
	v_fma_f64 v[72:73], -v[54:55], v[70:71], 1.0
	v_fmac_f64_e32 v[70:71], v[70:71], v[72:73]
	v_mul_f64 v[72:73], v[68:69], v[70:71]
	v_fma_f64 v[54:55], -v[54:55], v[72:73], v[68:69]
	v_div_fmas_f64 v[54:55], v[54:55], v[70:71], v[72:73]
	v_div_fixup_f64 v[68:69], v[54:55], v[64:65], 1.0
	v_mul_f64 v[72:73], v[68:69], v[68:69]
	v_mul_f64 v[74:75], v[56:57], v[56:57]
	;; [unrolled: 1-line block ×4, first 2 shown]
	v_pk_mov_b32 v[60:61], v[62:63], v[62:63] op_sel:[0,1]
	v_mul_f64 v[70:71], v[68:69], v[72:73]
	v_pk_mov_b32 v[54:55], v[62:63], v[62:63] op_sel:[0,1]
	s_waitcnt vmcnt(2)
	v_cmp_neq_f64_e32 vcc, 0, v[80:81]
	s_and_b64 s[6:7], vcc, s[0:1]
	s_and_saveexec_b64 s[4:5], s[6:7]
	s_cbranch_execnz .LBB0_100
; %bb.98:                               ;   in Loop: Header=BB0_93 Depth=1
	s_or_b64 exec, exec, s[4:5]
	s_and_saveexec_b64 s[4:5], s[2:3]
	s_cbranch_execnz .LBB0_101
.LBB0_99:                               ;   in Loop: Header=BB0_93 Depth=1
	s_or_b64 exec, exec, s[4:5]
	s_and_saveexec_b64 s[6:7], s[0:1]
	s_cbranch_execnz .LBB0_104
	s_branch .LBB0_107
.LBB0_100:                              ;   in Loop: Header=BB0_93 Depth=1
	v_fma_f64 v[60:61], -2.0, v[76:77], v[74:75]
	v_add_f64 v[62:63], v[74:75], v[78:79]
	v_add_f64 v[60:61], v[60:61], v[78:79]
	v_mul_f64 v[62:63], v[4:5], v[62:63]
	v_fma_f64 v[60:61], v[72:73], v[60:61], -v[62:63]
	v_mul_f64 v[62:63], v[58:59], s[26:27]
	v_mul_f64 v[54:55], v[70:71], v[80:81]
	;; [unrolled: 1-line block ×7, first 2 shown]
	v_fmac_f64_e32 v[80:81], v[86:87], v[56:57]
	v_mul_f64 v[88:89], v[72:73], v[62:63]
	v_fmac_f64_e32 v[60:61], v[24:25], v[80:81]
	v_fmac_f64_e32 v[88:89], v[86:87], v[52:53]
	;; [unrolled: 1-line block ×3, first 2 shown]
	v_fma_f64 v[62:63], v[60:61], v[54:55], 0
	v_fma_f64 v[60:61], -2.0, v[74:75], v[76:77]
	v_add_f64 v[86:87], v[76:77], v[78:79]
	v_add_f64 v[60:61], v[78:79], v[60:61]
	v_mul_f64 v[86:87], v[4:5], v[86:87]
	v_fma_f64 v[60:61], v[72:73], v[60:61], -v[86:87]
	v_mul_f64 v[60:61], v[24:25], v[60:61]
	v_fmac_f64_e32 v[60:61], v[22:23], v[80:81]
	v_mul_f64 v[80:81], v[56:57], s[26:27]
	v_mul_f64 v[80:81], v[80:81], v[52:53]
	;; [unrolled: 1-line block ×4, first 2 shown]
	v_fmac_f64_e32 v[80:81], v[86:87], v[52:53]
	v_fmac_f64_e32 v[60:61], v[18:19], v[80:81]
	v_mul_f64 v[80:81], v[24:25], v[80:81]
	v_fmac_f64_e32 v[80:81], v[22:23], v[88:89]
	v_fma_f64 v[86:87], -2.0, v[78:79], v[76:77]
	v_add_f64 v[88:89], v[76:77], v[74:75]
	v_add_f64 v[86:87], v[74:75], v[86:87]
	v_mul_f64 v[88:89], v[4:5], v[88:89]
	v_fma_f64 v[86:87], v[72:73], v[86:87], -v[88:89]
	v_fmac_f64_e32 v[80:81], v[18:19], v[86:87]
	v_fma_f64 v[60:61], v[60:61], v[54:55], 0
	v_fma_f64 v[54:55], v[80:81], v[54:55], 0
	s_or_b64 exec, exec, s[4:5]
	s_and_saveexec_b64 s[4:5], s[2:3]
	s_cbranch_execz .LBB0_99
.LBB0_101:                              ;   in Loop: Header=BB0_93 Depth=1
	global_load_dwordx2 v[80:81], v[50:51], off offset:104
	s_waitcnt vmcnt(0)
	v_cmp_neq_f64_e32 vcc, 0, v[80:81]
	s_and_saveexec_b64 s[6:7], vcc
	s_cbranch_execz .LBB0_103
; %bb.102:                              ;   in Loop: Header=BB0_93 Depth=1
	v_fma_f64 v[86:87], -2.0, v[76:77], v[74:75]
	v_add_f64 v[88:89], v[74:75], v[78:79]
	v_add_f64 v[86:87], v[86:87], v[78:79]
	v_mul_f64 v[88:89], v[4:5], v[88:89]
	v_fma_f64 v[86:87], v[72:73], v[86:87], -v[88:89]
	v_mul_f64 v[88:89], v[58:59], s[26:27]
	v_mul_f64 v[90:91], v[88:89], v[56:57]
	v_mul_f64 v[90:91], v[72:73], v[90:91]
	v_mul_f64 v[92:93], v[4:5], v[58:59]
	v_fmac_f64_e32 v[90:91], v[92:93], v[56:57]
	v_mul_f64 v[94:95], v[90:91], v[2:3]
	v_fmac_f64_e32 v[94:95], v[86:87], v[0:1]
	v_mul_f64 v[86:87], v[88:89], v[52:53]
	v_mul_f64 v[86:87], v[72:73], v[86:87]
	v_fmac_f64_e32 v[86:87], v[92:93], v[52:53]
	v_fma_f64 v[88:89], -2.0, v[74:75], v[76:77]
	v_add_f64 v[92:93], v[76:77], v[78:79]
	v_add_f64 v[88:89], v[78:79], v[88:89]
	v_mul_f64 v[92:93], v[4:5], v[92:93]
	v_fma_f64 v[88:89], v[72:73], v[88:89], -v[92:93]
	v_mul_f64 v[88:89], v[88:89], v[2:3]
	v_fmac_f64_e32 v[88:89], v[90:91], v[0:1]
	v_mul_f64 v[90:91], v[56:57], s[26:27]
	v_mul_f64 v[90:91], v[90:91], v[52:53]
	;; [unrolled: 1-line block ×4, first 2 shown]
	v_fmac_f64_e32 v[90:91], v[92:93], v[52:53]
	v_fma_f64 v[78:79], -2.0, v[78:79], v[76:77]
	v_mul_f64 v[80:81], v[70:71], v[16:17]
	v_fmac_f64_e32 v[88:89], v[90:91], v[66:67]
	v_add_f64 v[78:79], v[74:75], v[78:79]
	v_add_f64 v[74:75], v[76:77], v[74:75]
	v_fma_f64 v[60:61], -v[80:81], v[88:89], v[60:61]
	v_mul_f64 v[88:89], v[90:91], v[2:3]
	v_mul_f64 v[74:75], v[4:5], v[74:75]
	v_fmac_f64_e32 v[88:89], v[86:87], v[0:1]
	v_fma_f64 v[74:75], v[72:73], v[78:79], -v[74:75]
	v_fmac_f64_e32 v[94:95], v[86:87], v[66:67]
	v_fmac_f64_e32 v[88:89], v[74:75], v[66:67]
	v_fma_f64 v[62:63], -v[80:81], v[94:95], v[62:63]
	v_fma_f64 v[54:55], -v[80:81], v[88:89], v[54:55]
.LBB0_103:                              ;   in Loop: Header=BB0_93 Depth=1
	s_or_b64 exec, exec, s[6:7]
	s_or_b64 exec, exec, s[4:5]
	s_and_saveexec_b64 s[6:7], s[0:1]
	s_cbranch_execz .LBB0_107
.LBB0_104:                              ;   in Loop: Header=BB0_93 Depth=1
	global_load_dwordx2 v[74:75], v[50:51], off offset:104
	s_waitcnt vmcnt(0)
	v_cmp_neq_f64_e32 vcc, 0, v[74:75]
	s_and_saveexec_b64 s[8:9], vcc
	s_cbranch_execz .LBB0_106
; %bb.105:                              ;   in Loop: Header=BB0_93 Depth=1
	v_mul_f64 v[90:91], v[64:65], -s[20:21]
	v_mul_f64 v[92:93], v[90:91], s[28:29]
	v_rndne_f64_e32 v[92:93], v[92:93]
	v_fma_f64 v[94:95], s[34:35], v[92:93], v[90:91]
	v_fmac_f64_e32 v[94:95], s[52:53], v[92:93]
	v_pk_mov_b32 v[96:97], v[28:29], v[28:29] op_sel:[0,1]
	v_fmac_f64_e32 v[96:97], s[54:55], v[94:95]
	v_pk_mov_b32 v[98:99], v[30:31], v[30:31] op_sel:[0,1]
	;; [unrolled: 2-line block ×9, first 2 shown]
	v_mul_f64 v[74:75], v[64:65], v[64:65]
	v_fmac_f64_e32 v[96:97], v[94:95], v[98:99]
	v_mul_f64 v[76:77], v[64:65], v[74:75]
	v_fma_f64 v[96:97], v[94:95], v[96:97], 1.0
	v_fma_f64 v[94:95], v[94:95], v[96:97], 1.0
	v_cvt_i32_f64_e32 v85, v[92:93]
	v_mul_f64 v[76:77], v[20:21], v[76:77]
	v_ldexp_f64 v[92:93], v[94:95], v85
	v_div_scale_f64 v[94:95], s[10:11], s[60:61], s[60:61], v[76:77]
	v_rcp_f64_e32 v[96:97], v[94:95]
	v_cmp_nlt_f64_e32 vcc, s[56:57], v[90:91]
	v_cmp_ngt_f64_e64 s[4:5], s[58:59], v[90:91]
	v_cndmask_b32_e32 v85, v84, v93, vcc
	s_and_b64 vcc, s[4:5], vcc
	v_cndmask_b32_e32 v90, 0, v92, vcc
	v_fma_f64 v[92:93], v[64:65], s[20:21], 1.0
	v_fmac_f64_e32 v[92:93], v[8:9], v[74:75]
	v_fma_f64 v[74:75], -v[94:95], v[96:97], 1.0
	v_fmac_f64_e32 v[96:97], v[96:97], v[74:75]
	v_fma_f64 v[74:75], -v[94:95], v[96:97], 1.0
	v_fmac_f64_e32 v[96:97], v[96:97], v[74:75]
	v_div_scale_f64 v[74:75], vcc, v[76:77], s[60:61], v[76:77]
	v_mul_f64 v[98:99], v[74:75], v[96:97]
	v_mul_f64 v[78:79], v[72:73], v[70:71]
	;; [unrolled: 1-line block ×3, first 2 shown]
	v_fma_f64 v[74:75], -v[94:95], v[98:99], v[74:75]
	v_mul_f64 v[72:73], v[72:73], v[78:79]
	v_fmac_f64_e32 v[86:87], v[22:23], v[58:59]
	v_mul_f64 v[88:89], v[56:57], v[2:3]
	v_div_fmas_f64 v[74:75], v[74:75], v[96:97], v[98:99]
	v_mul_f64 v[80:81], v[24:25], v[2:3]
	v_fmac_f64_e32 v[86:87], v[18:19], v[52:53]
	v_fmac_f64_e32 v[88:89], v[58:59], v[0:1]
	v_div_fixup_f64 v[74:75], v[74:75], s[60:61], v[76:77]
	v_mul_f64 v[72:73], v[72:73], s[64:65]
	v_fmac_f64_e32 v[80:81], v[22:23], v[0:1]
	v_fmac_f64_e32 v[88:89], v[52:53], v[66:67]
	v_cndmask_b32_e64 v91, 0, v85, s[4:5]
	v_add_f64 v[74:75], v[92:93], v[74:75]
	v_mul_f64 v[72:73], v[72:73], v[86:87]
	v_mul_f64 v[64:65], v[64:65], 0.5
	v_fmac_f64_e32 v[80:81], v[18:19], v[66:67]
	v_mul_f64 v[76:77], v[78:79], s[62:63]
	v_mul_f64 v[72:73], v[72:73], v[88:89]
	v_fma_f64 v[96:97], -v[74:75], v[90:91], 1.0
	v_mul_f64 v[64:65], v[64:65], s[20:21]
	v_mul_f64 v[78:79], v[76:77], v[80:81]
	v_fma_f64 v[94:95], -v[92:93], v[90:91], 1.0
	v_mul_f64 v[72:73], v[96:97], v[72:73]
	v_mul_f64 v[70:71], v[70:71], -v[80:81]
	v_fma_f64 v[80:81], s[20:21], v[68:69], v[14:15]
	v_mul_f64 v[64:65], v[64:65], s[20:21]
	v_fmac_f64_e32 v[72:73], v[94:95], v[78:79]
	v_mul_f64 v[68:69], v[68:69], v[90:91]
	v_mul_f64 v[94:95], v[80:81], v[90:91]
	v_fmac_f64_e32 v[80:81], s[20:21], v[64:65]
	v_mul_f64 v[78:79], v[76:77], v[88:89]
	v_mul_f64 v[68:69], v[68:69], s[20:21]
	;; [unrolled: 1-line block ×5, first 2 shown]
	v_fma_f64 v[92:93], v[92:93], v[68:69], -v[94:95]
	v_fma_f64 v[64:65], v[74:75], v[68:69], -v[64:65]
	v_mul_f64 v[68:69], v[58:59], v[72:73]
	v_mul_f64 v[86:87], v[96:97], v[76:77]
	v_fmac_f64_e32 v[68:69], v[22:23], v[78:79]
	v_fmac_f64_e32 v[68:69], v[86:87], v[0:1]
	v_mul_f64 v[0:1], v[56:57], v[72:73]
	v_fmac_f64_e32 v[0:1], v[24:25], v[78:79]
	v_mul_f64 v[70:71], v[92:93], v[70:71]
	v_mul_f64 v[76:77], v[76:77], v[88:89]
	v_fmac_f64_e32 v[0:1], v[86:87], v[2:3]
	v_mul_f64 v[64:65], v[64:65], v[76:77]
	v_fmac_f64_e32 v[0:1], v[56:57], v[70:71]
	v_fmac_f64_e32 v[0:1], v[56:57], v[64:65]
	v_add_f64 v[60:61], v[60:61], v[0:1]
	v_mul_f64 v[0:1], v[52:53], v[72:73]
	v_fmac_f64_e32 v[0:1], v[18:19], v[78:79]
	v_fmac_f64_e32 v[0:1], v[86:87], v[66:67]
	;; [unrolled: 1-line block ×6, first 2 shown]
	v_add_f64 v[62:63], v[62:63], v[68:69]
	v_add_f64 v[54:55], v[54:55], v[0:1]
.LBB0_106:                              ;   in Loop: Header=BB0_93 Depth=1
	s_or_b64 exec, exec, s[8:9]
.LBB0_107:                              ;   in Loop: Header=BB0_93 Depth=1
	s_or_b64 exec, exec, s[6:7]
	global_load_dwordx2 v[2:3], v[38:39], off offset:48
	s_mov_b64 s[4:5], 0
.LBB0_108:                              ;   Parent Loop BB0_93 Depth=1
                                        ; =>  This Inner Loop Header: Depth=2
	s_waitcnt vmcnt(0)
	v_add_f64 v[0:1], v[2:3], v[62:63]
	global_atomic_cmpswap_x2 v[0:1], v[38:39], v[0:3], off offset:48 glc
	s_waitcnt vmcnt(0)
	v_cmp_eq_u64_e32 vcc, v[0:1], v[2:3]
	s_or_b64 s[4:5], vcc, s[4:5]
	v_pk_mov_b32 v[2:3], v[0:1], v[0:1] op_sel:[0,1]
	s_andn2_b64 exec, exec, s[4:5]
	s_cbranch_execnz .LBB0_108
; %bb.109:                              ;   in Loop: Header=BB0_93 Depth=1
	s_or_b64 exec, exec, s[4:5]
	global_load_dwordx2 v[2:3], v[50:51], off offset:48
	s_mov_b64 s[4:5], 0
.LBB0_110:                              ;   Parent Loop BB0_93 Depth=1
                                        ; =>  This Inner Loop Header: Depth=2
	s_waitcnt vmcnt(0)
	v_add_f64 v[0:1], v[2:3], -v[62:63]
	global_atomic_cmpswap_x2 v[0:1], v[50:51], v[0:3], off offset:48 glc
	s_waitcnt vmcnt(0)
	v_cmp_eq_u64_e32 vcc, v[0:1], v[2:3]
	s_or_b64 s[4:5], vcc, s[4:5]
	v_pk_mov_b32 v[2:3], v[0:1], v[0:1] op_sel:[0,1]
	s_andn2_b64 exec, exec, s[4:5]
	s_cbranch_execnz .LBB0_110
; %bb.111:                              ;   in Loop: Header=BB0_93 Depth=1
	s_or_b64 exec, exec, s[4:5]
	global_load_dwordx2 v[2:3], v[38:39], off offset:56
	s_mov_b64 s[4:5], 0
.LBB0_112:                              ;   Parent Loop BB0_93 Depth=1
                                        ; =>  This Inner Loop Header: Depth=2
	s_waitcnt vmcnt(0)
	v_add_f64 v[0:1], v[2:3], v[60:61]
	global_atomic_cmpswap_x2 v[0:1], v[38:39], v[0:3], off offset:56 glc
	s_waitcnt vmcnt(0)
	v_cmp_eq_u64_e32 vcc, v[0:1], v[2:3]
	s_or_b64 s[4:5], vcc, s[4:5]
	v_pk_mov_b32 v[2:3], v[0:1], v[0:1] op_sel:[0,1]
	s_andn2_b64 exec, exec, s[4:5]
	s_cbranch_execnz .LBB0_112
; %bb.113:                              ;   in Loop: Header=BB0_93 Depth=1
	s_or_b64 exec, exec, s[4:5]
	global_load_dwordx2 v[2:3], v[50:51], off offset:56
	s_mov_b64 s[4:5], 0
.LBB0_114:                              ;   Parent Loop BB0_93 Depth=1
                                        ; =>  This Inner Loop Header: Depth=2
	s_waitcnt vmcnt(0)
	v_add_f64 v[0:1], v[2:3], -v[60:61]
	global_atomic_cmpswap_x2 v[0:1], v[50:51], v[0:3], off offset:56 glc
	s_waitcnt vmcnt(0)
	v_cmp_eq_u64_e32 vcc, v[0:1], v[2:3]
	s_or_b64 s[4:5], vcc, s[4:5]
	v_pk_mov_b32 v[2:3], v[0:1], v[0:1] op_sel:[0,1]
	s_andn2_b64 exec, exec, s[4:5]
	s_cbranch_execnz .LBB0_114
; %bb.115:                              ;   in Loop: Header=BB0_93 Depth=1
	s_or_b64 exec, exec, s[4:5]
	global_load_dwordx2 v[2:3], v[38:39], off offset:64
	s_mov_b64 s[4:5], 0
.LBB0_116:                              ;   Parent Loop BB0_93 Depth=1
                                        ; =>  This Inner Loop Header: Depth=2
	s_waitcnt vmcnt(0)
	v_add_f64 v[0:1], v[2:3], v[54:55]
	global_atomic_cmpswap_x2 v[0:1], v[38:39], v[0:3], off offset:64 glc
	s_waitcnt vmcnt(0)
	v_cmp_eq_u64_e32 vcc, v[0:1], v[2:3]
	s_or_b64 s[4:5], vcc, s[4:5]
	v_pk_mov_b32 v[2:3], v[0:1], v[0:1] op_sel:[0,1]
	s_andn2_b64 exec, exec, s[4:5]
	s_cbranch_execnz .LBB0_116
; %bb.117:                              ;   in Loop: Header=BB0_93 Depth=1
	s_or_b64 exec, exec, s[4:5]
	global_load_dwordx2 v[2:3], v[50:51], off offset:64
	s_mov_b64 s[4:5], 0
.LBB0_118:                              ;   Parent Loop BB0_93 Depth=1
                                        ; =>  This Inner Loop Header: Depth=2
	s_waitcnt vmcnt(0)
	v_add_f64 v[0:1], v[2:3], -v[54:55]
	global_atomic_cmpswap_x2 v[0:1], v[50:51], v[0:3], off offset:64 glc
	s_waitcnt vmcnt(0)
	v_cmp_eq_u64_e32 vcc, v[0:1], v[2:3]
	s_or_b64 s[4:5], vcc, s[4:5]
	v_pk_mov_b32 v[2:3], v[0:1], v[0:1] op_sel:[0,1]
	s_andn2_b64 exec, exec, s[4:5]
	s_cbranch_execnz .LBB0_118
	s_branch .LBB0_92
.LBB0_119:
	s_endpgm
	.section	.rodata,"a",@progbits
	.p2align	6, 0x0
	.amdhsa_kernel _Z20calculateForceKernelP6atom_tidPKdS2_idiid
		.amdhsa_group_segment_fixed_size 0
		.amdhsa_private_segment_fixed_size 156
		.amdhsa_kernarg_size 328
		.amdhsa_user_sgpr_count 6
		.amdhsa_user_sgpr_private_segment_buffer 1
		.amdhsa_user_sgpr_dispatch_ptr 0
		.amdhsa_user_sgpr_queue_ptr 0
		.amdhsa_user_sgpr_kernarg_segment_ptr 1
		.amdhsa_user_sgpr_dispatch_id 0
		.amdhsa_user_sgpr_flat_scratch_init 0
		.amdhsa_user_sgpr_kernarg_preload_length 0
		.amdhsa_user_sgpr_kernarg_preload_offset 0
		.amdhsa_user_sgpr_private_segment_size 0
		.amdhsa_uses_dynamic_stack 0
		.amdhsa_system_sgpr_private_segment_wavefront_offset 1
		.amdhsa_system_sgpr_workgroup_id_x 1
		.amdhsa_system_sgpr_workgroup_id_y 0
		.amdhsa_system_sgpr_workgroup_id_z 0
		.amdhsa_system_sgpr_workgroup_info 0
		.amdhsa_system_vgpr_workitem_id 0
		.amdhsa_next_free_vgpr 128
		.amdhsa_next_free_sgpr 100
		.amdhsa_accum_offset 128
		.amdhsa_reserve_vcc 1
		.amdhsa_reserve_flat_scratch 0
		.amdhsa_float_round_mode_32 0
		.amdhsa_float_round_mode_16_64 0
		.amdhsa_float_denorm_mode_32 3
		.amdhsa_float_denorm_mode_16_64 3
		.amdhsa_dx10_clamp 1
		.amdhsa_ieee_mode 1
		.amdhsa_fp16_overflow 0
		.amdhsa_tg_split 0
		.amdhsa_exception_fp_ieee_invalid_op 0
		.amdhsa_exception_fp_denorm_src 0
		.amdhsa_exception_fp_ieee_div_zero 0
		.amdhsa_exception_fp_ieee_overflow 0
		.amdhsa_exception_fp_ieee_underflow 0
		.amdhsa_exception_fp_ieee_inexact 0
		.amdhsa_exception_int_div_zero 0
	.end_amdhsa_kernel
	.text
.Lfunc_end0:
	.size	_Z20calculateForceKernelP6atom_tidPKdS2_idiid, .Lfunc_end0-_Z20calculateForceKernelP6atom_tidPKdS2_idiid
                                        ; -- End function
	.section	.AMDGPU.csdata,"",@progbits
; Kernel info:
; codeLenInByte = 12484
; NumSgprs: 104
; NumVgprs: 128
; NumAgprs: 0
; TotalNumVgprs: 128
; ScratchSize: 156
; MemoryBound: 1
; FloatMode: 240
; IeeeMode: 1
; LDSByteSize: 0 bytes/workgroup (compile time only)
; SGPRBlocks: 12
; VGPRBlocks: 15
; NumSGPRsForWavesPerEU: 104
; NumVGPRsForWavesPerEU: 128
; AccumOffset: 128
; Occupancy: 4
; WaveLimiterHint : 1
; COMPUTE_PGM_RSRC2:SCRATCH_EN: 1
; COMPUTE_PGM_RSRC2:USER_SGPR: 6
; COMPUTE_PGM_RSRC2:TRAP_HANDLER: 0
; COMPUTE_PGM_RSRC2:TGID_X_EN: 1
; COMPUTE_PGM_RSRC2:TGID_Y_EN: 0
; COMPUTE_PGM_RSRC2:TGID_Z_EN: 0
; COMPUTE_PGM_RSRC2:TIDIG_COMP_CNT: 0
; COMPUTE_PGM_RSRC3_GFX90A:ACCUM_OFFSET: 31
; COMPUTE_PGM_RSRC3_GFX90A:TG_SPLIT: 0
	.text
	.p2alignl 6, 3212836864
	.fill 256, 4, 3212836864
	.type	__hip_cuid_b169798b43b1353c,@object ; @__hip_cuid_b169798b43b1353c
	.section	.bss,"aw",@nobits
	.globl	__hip_cuid_b169798b43b1353c
__hip_cuid_b169798b43b1353c:
	.byte	0                               ; 0x0
	.size	__hip_cuid_b169798b43b1353c, 1

	.ident	"AMD clang version 19.0.0git (https://github.com/RadeonOpenCompute/llvm-project roc-6.4.0 25133 c7fe45cf4b819c5991fe208aaa96edf142730f1d)"
	.section	".note.GNU-stack","",@progbits
	.addrsig
	.addrsig_sym __hip_cuid_b169798b43b1353c
	.amdgpu_metadata
---
amdhsa.kernels:
  - .agpr_count:     0
    .args:
      - .address_space:  global
        .offset:         0
        .size:           8
        .value_kind:     global_buffer
      - .offset:         8
        .size:           4
        .value_kind:     by_value
      - .offset:         16
        .size:           8
        .value_kind:     by_value
      - .actual_access:  read_only
        .address_space:  global
        .offset:         24
        .size:           8
        .value_kind:     global_buffer
      - .actual_access:  read_only
        .address_space:  global
        .offset:         32
        .size:           8
        .value_kind:     global_buffer
      - .offset:         40
        .size:           4
        .value_kind:     by_value
      - .offset:         48
        .size:           8
        .value_kind:     by_value
      - .offset:         56
        .size:           4
        .value_kind:     by_value
      - .offset:         60
        .size:           4
        .value_kind:     by_value
      - .offset:         64
        .size:           8
        .value_kind:     by_value
      - .offset:         72
        .size:           4
        .value_kind:     hidden_block_count_x
      - .offset:         76
        .size:           4
        .value_kind:     hidden_block_count_y
      - .offset:         80
        .size:           4
        .value_kind:     hidden_block_count_z
      - .offset:         84
        .size:           2
        .value_kind:     hidden_group_size_x
      - .offset:         86
        .size:           2
        .value_kind:     hidden_group_size_y
      - .offset:         88
        .size:           2
        .value_kind:     hidden_group_size_z
      - .offset:         90
        .size:           2
        .value_kind:     hidden_remainder_x
      - .offset:         92
        .size:           2
        .value_kind:     hidden_remainder_y
      - .offset:         94
        .size:           2
        .value_kind:     hidden_remainder_z
      - .offset:         112
        .size:           8
        .value_kind:     hidden_global_offset_x
      - .offset:         120
        .size:           8
        .value_kind:     hidden_global_offset_y
      - .offset:         128
        .size:           8
        .value_kind:     hidden_global_offset_z
      - .offset:         136
        .size:           2
        .value_kind:     hidden_grid_dims
    .group_segment_fixed_size: 0
    .kernarg_segment_align: 8
    .kernarg_segment_size: 328
    .language:       OpenCL C
    .language_version:
      - 2
      - 0
    .max_flat_workgroup_size: 1024
    .name:           _Z20calculateForceKernelP6atom_tidPKdS2_idiid
    .private_segment_fixed_size: 156
    .sgpr_count:     104
    .sgpr_spill_count: 24
    .symbol:         _Z20calculateForceKernelP6atom_tidPKdS2_idiid.kd
    .uniform_work_group_size: 1
    .uses_dynamic_stack: false
    .vgpr_count:     128
    .vgpr_spill_count: 38
    .wavefront_size: 64
amdhsa.target:   amdgcn-amd-amdhsa--gfx90a
amdhsa.version:
  - 1
  - 2
...

	.end_amdgpu_metadata
